;; amdgpu-corpus repo=ROCm/rocFFT kind=compiled arch=gfx950 opt=O3
	.text
	.amdgcn_target "amdgcn-amd-amdhsa--gfx950"
	.amdhsa_code_object_version 6
	.protected	fft_rtc_back_len1400_factors_2_2_2_5_7_5_wgs_56_tpt_56_halfLds_sp_op_CI_CI_unitstride_sbrr_R2C_dirReg ; -- Begin function fft_rtc_back_len1400_factors_2_2_2_5_7_5_wgs_56_tpt_56_halfLds_sp_op_CI_CI_unitstride_sbrr_R2C_dirReg
	.globl	fft_rtc_back_len1400_factors_2_2_2_5_7_5_wgs_56_tpt_56_halfLds_sp_op_CI_CI_unitstride_sbrr_R2C_dirReg
	.p2align	8
	.type	fft_rtc_back_len1400_factors_2_2_2_5_7_5_wgs_56_tpt_56_halfLds_sp_op_CI_CI_unitstride_sbrr_R2C_dirReg,@function
fft_rtc_back_len1400_factors_2_2_2_5_7_5_wgs_56_tpt_56_halfLds_sp_op_CI_CI_unitstride_sbrr_R2C_dirReg: ; @fft_rtc_back_len1400_factors_2_2_2_5_7_5_wgs_56_tpt_56_halfLds_sp_op_CI_CI_unitstride_sbrr_R2C_dirReg
; %bb.0:
	s_load_dwordx4 s[4:7], s[0:1], 0x58
	s_load_dwordx4 s[8:11], s[0:1], 0x0
	;; [unrolled: 1-line block ×3, first 2 shown]
	v_mul_u32_u24_e32 v1, 0x493, v0
	v_add_u32_sdwa v6, s2, v1 dst_sel:DWORD dst_unused:UNUSED_PAD src0_sel:DWORD src1_sel:WORD_1
	v_mov_b32_e32 v4, 0
	s_waitcnt lgkmcnt(0)
	v_cmp_lt_u64_e64 s[2:3], s[10:11], 2
	v_mov_b32_e32 v7, v4
	s_and_b64 vcc, exec, s[2:3]
	v_mov_b64_e32 v[2:3], 0
	s_cbranch_vccnz .LBB0_8
; %bb.1:
	s_load_dwordx2 s[2:3], s[0:1], 0x10
	s_add_u32 s16, s14, 8
	s_addc_u32 s17, s15, 0
	s_add_u32 s18, s12, 8
	s_addc_u32 s19, s13, 0
	s_waitcnt lgkmcnt(0)
	s_add_u32 s20, s2, 8
	v_mov_b64_e32 v[2:3], 0
	s_addc_u32 s21, s3, 0
	s_mov_b64 s[22:23], 1
	v_mov_b64_e32 v[48:49], v[2:3]
.LBB0_2:                                ; =>This Inner Loop Header: Depth=1
	s_load_dwordx2 s[24:25], s[20:21], 0x0
                                        ; implicit-def: $vgpr52_vgpr53
	s_waitcnt lgkmcnt(0)
	v_or_b32_e32 v5, s25, v7
	v_cmp_ne_u64_e32 vcc, 0, v[4:5]
	s_and_saveexec_b64 s[2:3], vcc
	s_xor_b64 s[26:27], exec, s[2:3]
	s_cbranch_execz .LBB0_4
; %bb.3:                                ;   in Loop: Header=BB0_2 Depth=1
	v_cvt_f32_u32_e32 v1, s24
	v_cvt_f32_u32_e32 v5, s25
	s_sub_u32 s2, 0, s24
	s_subb_u32 s3, 0, s25
	v_fmac_f32_e32 v1, 0x4f800000, v5
	v_rcp_f32_e32 v1, v1
	s_nop 0
	v_mul_f32_e32 v1, 0x5f7ffffc, v1
	v_mul_f32_e32 v5, 0x2f800000, v1
	v_trunc_f32_e32 v5, v5
	v_fmac_f32_e32 v1, 0xcf800000, v5
	v_cvt_u32_f32_e32 v5, v5
	v_cvt_u32_f32_e32 v1, v1
	v_mul_lo_u32 v8, s2, v5
	v_mul_hi_u32 v10, s2, v1
	v_mul_lo_u32 v9, s3, v1
	v_add_u32_e32 v10, v10, v8
	v_mul_lo_u32 v12, s2, v1
	v_add_u32_e32 v13, v10, v9
	v_mul_hi_u32 v8, v1, v12
	v_mul_hi_u32 v11, v1, v13
	v_mul_lo_u32 v10, v1, v13
	v_mov_b32_e32 v9, v4
	v_lshl_add_u64 v[8:9], v[8:9], 0, v[10:11]
	v_mul_hi_u32 v11, v5, v12
	v_mul_lo_u32 v12, v5, v12
	v_add_co_u32_e32 v8, vcc, v8, v12
	v_mul_hi_u32 v10, v5, v13
	s_nop 0
	v_addc_co_u32_e32 v8, vcc, v9, v11, vcc
	v_mov_b32_e32 v9, v4
	s_nop 0
	v_addc_co_u32_e32 v11, vcc, 0, v10, vcc
	v_mul_lo_u32 v10, v5, v13
	v_lshl_add_u64 v[8:9], v[8:9], 0, v[10:11]
	v_add_co_u32_e32 v1, vcc, v1, v8
	v_mul_lo_u32 v10, s2, v1
	s_nop 0
	v_addc_co_u32_e32 v5, vcc, v5, v9, vcc
	v_mul_lo_u32 v8, s2, v5
	v_mul_hi_u32 v9, s2, v1
	v_add_u32_e32 v8, v9, v8
	v_mul_lo_u32 v9, s3, v1
	v_add_u32_e32 v12, v8, v9
	v_mul_hi_u32 v14, v5, v10
	v_mul_lo_u32 v15, v5, v10
	v_mul_hi_u32 v9, v1, v12
	v_mul_lo_u32 v8, v1, v12
	v_mul_hi_u32 v10, v1, v10
	v_mov_b32_e32 v11, v4
	v_lshl_add_u64 v[8:9], v[10:11], 0, v[8:9]
	v_add_co_u32_e32 v8, vcc, v8, v15
	v_mul_hi_u32 v13, v5, v12
	s_nop 0
	v_addc_co_u32_e32 v8, vcc, v9, v14, vcc
	v_mul_lo_u32 v10, v5, v12
	s_nop 0
	v_addc_co_u32_e32 v11, vcc, 0, v13, vcc
	v_mov_b32_e32 v9, v4
	v_lshl_add_u64 v[8:9], v[8:9], 0, v[10:11]
	v_add_co_u32_e32 v1, vcc, v1, v8
	v_mul_hi_u32 v10, v6, v1
	s_nop 0
	v_addc_co_u32_e32 v5, vcc, v5, v9, vcc
	v_mad_u64_u32 v[8:9], s[2:3], v6, v5, 0
	v_mov_b32_e32 v11, v4
	v_lshl_add_u64 v[8:9], v[10:11], 0, v[8:9]
	v_mad_u64_u32 v[12:13], s[2:3], v7, v1, 0
	v_add_co_u32_e32 v1, vcc, v8, v12
	v_mad_u64_u32 v[10:11], s[2:3], v7, v5, 0
	s_nop 0
	v_addc_co_u32_e32 v8, vcc, v9, v13, vcc
	v_mov_b32_e32 v9, v4
	s_nop 0
	v_addc_co_u32_e32 v11, vcc, 0, v11, vcc
	v_lshl_add_u64 v[8:9], v[8:9], 0, v[10:11]
	v_mul_lo_u32 v1, s25, v8
	v_mul_lo_u32 v5, s24, v9
	v_mad_u64_u32 v[10:11], s[2:3], s24, v8, 0
	v_add3_u32 v1, v11, v5, v1
	v_sub_u32_e32 v5, v7, v1
	v_mov_b32_e32 v11, s25
	v_sub_co_u32_e32 v14, vcc, v6, v10
	v_lshl_add_u64 v[12:13], v[8:9], 0, 1
	s_nop 0
	v_subb_co_u32_e64 v5, s[2:3], v5, v11, vcc
	v_subrev_co_u32_e64 v10, s[2:3], s24, v14
	v_subb_co_u32_e32 v1, vcc, v7, v1, vcc
	s_nop 0
	v_subbrev_co_u32_e64 v5, s[2:3], 0, v5, s[2:3]
	v_cmp_le_u32_e64 s[2:3], s25, v5
	v_cmp_le_u32_e32 vcc, s25, v1
	s_nop 0
	v_cndmask_b32_e64 v11, 0, -1, s[2:3]
	v_cmp_le_u32_e64 s[2:3], s24, v10
	s_nop 1
	v_cndmask_b32_e64 v10, 0, -1, s[2:3]
	v_cmp_eq_u32_e64 s[2:3], s25, v5
	s_nop 1
	v_cndmask_b32_e64 v5, v11, v10, s[2:3]
	v_lshl_add_u64 v[10:11], v[8:9], 0, 2
	v_cmp_ne_u32_e64 s[2:3], 0, v5
	s_nop 1
	v_cndmask_b32_e64 v5, v13, v11, s[2:3]
	v_cndmask_b32_e64 v11, 0, -1, vcc
	v_cmp_le_u32_e32 vcc, s24, v14
	s_nop 1
	v_cndmask_b32_e64 v13, 0, -1, vcc
	v_cmp_eq_u32_e32 vcc, s25, v1
	s_nop 1
	v_cndmask_b32_e32 v1, v11, v13, vcc
	v_cmp_ne_u32_e32 vcc, 0, v1
	v_cndmask_b32_e64 v1, v12, v10, s[2:3]
	s_nop 0
	v_cndmask_b32_e32 v53, v9, v5, vcc
	v_cndmask_b32_e32 v52, v8, v1, vcc
.LBB0_4:                                ;   in Loop: Header=BB0_2 Depth=1
	s_andn2_saveexec_b64 s[2:3], s[26:27]
	s_cbranch_execz .LBB0_6
; %bb.5:                                ;   in Loop: Header=BB0_2 Depth=1
	v_cvt_f32_u32_e32 v1, s24
	s_sub_i32 s26, 0, s24
	v_mov_b32_e32 v53, v4
	v_rcp_iflag_f32_e32 v1, v1
	s_nop 0
	v_mul_f32_e32 v1, 0x4f7ffffe, v1
	v_cvt_u32_f32_e32 v1, v1
	v_mul_lo_u32 v5, s26, v1
	v_mul_hi_u32 v5, v1, v5
	v_add_u32_e32 v1, v1, v5
	v_mul_hi_u32 v1, v6, v1
	v_mul_lo_u32 v5, v1, s24
	v_sub_u32_e32 v5, v6, v5
	v_add_u32_e32 v8, 1, v1
	v_subrev_u32_e32 v9, s24, v5
	v_cmp_le_u32_e32 vcc, s24, v5
	s_nop 1
	v_cndmask_b32_e32 v5, v5, v9, vcc
	v_cndmask_b32_e32 v1, v1, v8, vcc
	v_add_u32_e32 v8, 1, v1
	v_cmp_le_u32_e32 vcc, s24, v5
	s_nop 1
	v_cndmask_b32_e32 v52, v1, v8, vcc
.LBB0_6:                                ;   in Loop: Header=BB0_2 Depth=1
	s_or_b64 exec, exec, s[2:3]
	v_mad_u64_u32 v[8:9], s[2:3], v52, s24, 0
	s_load_dwordx2 s[2:3], s[18:19], 0x0
	v_mul_lo_u32 v1, v53, s24
	v_mul_lo_u32 v5, v52, s25
	s_load_dwordx2 s[24:25], s[16:17], 0x0
	s_add_u32 s22, s22, 1
	v_add3_u32 v1, v9, v5, v1
	v_sub_co_u32_e32 v5, vcc, v6, v8
	s_addc_u32 s23, s23, 0
	s_nop 0
	v_subb_co_u32_e32 v1, vcc, v7, v1, vcc
	s_add_u32 s16, s16, 8
	s_waitcnt lgkmcnt(0)
	v_mul_lo_u32 v6, s2, v1
	v_mul_lo_u32 v7, s3, v5
	v_mad_u64_u32 v[2:3], s[2:3], s2, v5, v[2:3]
	s_addc_u32 s17, s17, 0
	v_add3_u32 v3, v7, v3, v6
	v_mul_lo_u32 v1, s24, v1
	v_mul_lo_u32 v6, s25, v5
	v_mad_u64_u32 v[48:49], s[2:3], s24, v5, v[48:49]
	s_add_u32 s18, s18, 8
	v_add3_u32 v49, v6, v49, v1
	s_addc_u32 s19, s19, 0
	v_mov_b64_e32 v[6:7], s[10:11]
	s_add_u32 s20, s20, 8
	v_cmp_ge_u64_e32 vcc, s[22:23], v[6:7]
	s_addc_u32 s21, s21, 0
	s_cbranch_vccnz .LBB0_9
; %bb.7:                                ;   in Loop: Header=BB0_2 Depth=1
	v_mov_b64_e32 v[6:7], v[52:53]
	s_branch .LBB0_2
.LBB0_8:
	v_mov_b64_e32 v[48:49], v[2:3]
	v_mov_b64_e32 v[52:53], v[6:7]
.LBB0_9:
	s_load_dwordx2 s[0:1], s[0:1], 0x28
	s_lshl_b64 s[16:17], s[10:11], 3
	s_add_u32 s2, s14, s16
	s_addc_u32 s3, s15, s17
                                        ; implicit-def: $vgpr50
                                        ; implicit-def: $vgpr54
                                        ; implicit-def: $vgpr76
                                        ; implicit-def: $vgpr74
                                        ; implicit-def: $vgpr72
                                        ; implicit-def: $vgpr70
                                        ; implicit-def: $vgpr68
                                        ; implicit-def: $vgpr66
                                        ; implicit-def: $vgpr64
                                        ; implicit-def: $vgpr62
                                        ; implicit-def: $vgpr60
                                        ; implicit-def: $vgpr58
                                        ; implicit-def: $vgpr56
	s_waitcnt lgkmcnt(0)
	v_cmp_gt_u64_e32 vcc, s[0:1], v[52:53]
	v_cmp_le_u64_e64 s[0:1], s[0:1], v[52:53]
	s_and_saveexec_b64 s[10:11], s[0:1]
	s_xor_b64 s[0:1], exec, s[10:11]
	s_cbranch_execz .LBB0_11
; %bb.10:
	s_mov_b32 s10, 0x4924925
	v_mul_hi_u32 v1, v0, s10
	v_mul_u32_u24_e32 v1, 56, v1
	v_sub_u32_e32 v50, v0, v1
	v_add_u32_e32 v54, 56, v50
	v_add_u32_e32 v76, 0x70, v50
	;; [unrolled: 1-line block ×7, first 2 shown]
	v_or_b32_e32 v64, 0x1c0, v50
	v_add_u32_e32 v62, 0x1f8, v50
	v_add_u32_e32 v60, 0x230, v50
	;; [unrolled: 1-line block ×4, first 2 shown]
                                        ; implicit-def: $vgpr0
                                        ; implicit-def: $vgpr2_vgpr3
.LBB0_11:
	s_andn2_saveexec_b64 s[10:11], s[0:1]
	s_cbranch_execz .LBB0_13
; %bb.12:
	s_add_u32 s0, s12, s16
	s_addc_u32 s1, s13, s17
	s_load_dwordx2 s[0:1], s[0:1], 0x0
	s_mov_b32 s12, 0x4924925
	s_waitcnt lgkmcnt(0)
	v_mul_lo_u32 v1, s1, v52
	v_mul_lo_u32 v6, s0, v53
	v_mad_u64_u32 v[4:5], s[0:1], s0, v52, 0
	v_add3_u32 v5, v5, v6, v1
	v_mul_hi_u32 v1, v0, s12
	v_mul_u32_u24_e32 v1, 56, v1
	v_sub_u32_e32 v50, v0, v1
	v_lshl_add_u64 v[0:1], v[4:5], 3, s[4:5]
	v_lshl_add_u64 v[0:1], v[2:3], 3, v[0:1]
	v_lshlrev_b32_e32 v2, 3, v50
	v_mov_b32_e32 v3, 0
	v_lshl_add_u64 v[4:5], v[0:1], 0, v[2:3]
	s_movk_i32 s0, 0x1000
	v_add_co_u32_e64 v22, s[0:1], s0, v4
	global_load_dwordx2 v[6:7], v[4:5], off
	global_load_dwordx2 v[8:9], v[4:5], off offset:448
	global_load_dwordx2 v[10:11], v[4:5], off offset:896
	;; [unrolled: 1-line block ×7, first 2 shown]
	v_addc_co_u32_e64 v23, s[0:1], 0, v5, s[0:1]
	s_movk_i32 s0, 0x2000
	global_load_dwordx2 v[24:25], v[4:5], off offset:3584
	global_load_dwordx2 v[26:27], v[4:5], off offset:4032
	;; [unrolled: 1-line block ×8, first 2 shown]
	v_add_co_u32_e64 v4, s[0:1], s0, v4
	v_or_b32_e32 v40, 0x1c00, v2
	v_mov_b32_e32 v41, v3
	v_addc_co_u32_e64 v5, s[0:1], 0, v5, s[0:1]
	v_lshl_add_u64 v[40:41], v[0:1], 0, v[40:41]
	global_load_dwordx2 v[42:43], v[22:23], off offset:3520
	global_load_dwordx2 v[44:45], v[4:5], off offset:320
	global_load_dwordx2 v[46:47], v[40:41], off
	global_load_dwordx2 v[78:79], v[22:23], off offset:3968
	global_load_dwordx2 v[80:81], v[4:5], off offset:768
	;; [unrolled: 1-line block ×5, first 2 shown]
	v_add_u32_e32 v51, 0, v2
	v_or_b32_e32 v2, 0x2a00, v2
	v_lshl_add_u64 v[0:1], v[0:1], 0, v[2:3]
	global_load_dwordx2 v[0:1], v[0:1], off
	v_add_u32_e32 v54, 56, v50
	v_add_u32_e32 v76, 0x70, v50
	;; [unrolled: 1-line block ×7, first 2 shown]
	v_or_b32_e32 v64, 0x1c0, v50
	v_add_u32_e32 v62, 0x1f8, v50
	v_add_u32_e32 v60, 0x230, v50
	;; [unrolled: 1-line block ×11, first 2 shown]
	s_waitcnt vmcnt(23)
	ds_write2_b64 v51, v[6:7], v[8:9] offset1:56
	s_waitcnt vmcnt(21)
	ds_write2_b64 v51, v[10:11], v[12:13] offset0:112 offset1:168
	s_waitcnt vmcnt(19)
	ds_write2_b64 v2, v[14:15], v[16:17] offset0:96 offset1:152
	s_waitcnt vmcnt(17)
	ds_write2_b64 v3, v[18:19], v[20:21] offset0:80 offset1:136
	s_waitcnt vmcnt(15)
	ds_write2_b64 v3, v[24:25], v[26:27] offset0:192 offset1:248
	s_waitcnt vmcnt(13)
	ds_write2_b64 v4, v[28:29], v[30:31] offset0:48 offset1:104
	s_waitcnt vmcnt(11)
	ds_write2_b64 v4, v[32:33], v[34:35] offset0:160 offset1:216
	s_waitcnt vmcnt(9)
	ds_write2_b64 v5, v[36:37], v[38:39] offset0:16 offset1:72
	s_waitcnt vmcnt(6)
	ds_write2_b64 v5, v[46:47], v[42:43] offset0:128 offset1:184
	s_waitcnt vmcnt(5)
	ds_write2_b64 v22, v[78:79], v[44:45] offset0:112 offset1:168
	s_waitcnt vmcnt(3)
	ds_write2_b64 v23, v[80:81], v[82:83] offset0:96 offset1:152
	s_waitcnt vmcnt(1)
	ds_write2_b64 v40, v[84:85], v[86:87] offset0:80 offset1:136
	s_waitcnt vmcnt(0)
	ds_write_b64 v51, v[0:1] offset:10752
.LBB0_13:
	s_or_b64 exec, exec, s[10:11]
	v_lshlrev_b32_e32 v51, 3, v50
	v_add_u32_e32 v57, 0, v51
	v_add_u32_e32 v0, 0x1000, v57
	;; [unrolled: 1-line block ×4, first 2 shown]
	s_load_dwordx2 s[10:11], s[2:3], 0x0
	s_waitcnt lgkmcnt(0)
	; wave barrier
	s_waitcnt lgkmcnt(0)
	ds_read2_b64 v[4:7], v0 offset0:160 offset1:188
	ds_read2_b64 v[8:11], v1 offset0:36 offset1:92
	;; [unrolled: 1-line block ×5, first 2 shown]
	v_add_u32_e32 v2, 0x1c00, v57
	ds_read2_b64 v[24:27], v2 offset0:84 offset1:140
	v_add_u32_e32 v2, 0x400, v57
	v_add_u32_e32 v3, 0x1400, v57
	;; [unrolled: 1-line block ×3, first 2 shown]
	ds_read2_b64 v[28:31], v2 offset0:96 offset1:152
	v_add_u32_e32 v2, 0x1800, v57
	ds_read2_b64 v[32:35], v3 offset0:116 offset1:172
	ds_read2_b64 v[36:39], v1 offset0:180 offset1:236
	;; [unrolled: 1-line block ×4, first 2 shown]
	ds_read2_b64 v[78:81], v57 offset1:56
	ds_read2_b64 v[82:85], v57 offset0:112 offset1:168
	v_add_u32_e32 v3, v57, v51
	s_waitcnt lgkmcnt(0)
	; wave barrier
	s_waitcnt lgkmcnt(0)
	v_pk_add_f32 v[6:7], v[78:79], v[6:7] neg_lo:[0,1] neg_hi:[0,1]
	v_lshl_add_u32 v63, v74, 4, 0
	v_pk_fma_f32 v[78:79], v[78:79], 2.0, v[6:7] op_sel_hi:[1,0,1] neg_lo:[0,0,1] neg_hi:[0,0,1]
	ds_write2_b64 v3, v[78:79], v[6:7] offset1:1
	v_pk_add_f32 v[6:7], v[80:81], v[32:33] neg_lo:[0,1] neg_hi:[0,1]
	v_lshl_add_u32 v3, v54, 4, 0
	v_pk_fma_f32 v[32:33], v[80:81], 2.0, v[6:7] op_sel_hi:[1,0,1] neg_lo:[0,0,1] neg_hi:[0,0,1]
	ds_write2_b64 v3, v[32:33], v[6:7] offset1:1
	;; [unrolled: 4-line block ×6, first 2 shown]
	v_pk_add_f32 v[6:7], v[20:21], v[26:27] neg_lo:[0,1] neg_hi:[0,1]
	v_pk_add_f32 v[26:27], v[4:5], v[10:11] neg_lo:[0,1] neg_hi:[0,1]
	v_pk_fma_f32 v[20:21], v[20:21], 2.0, v[6:7] op_sel_hi:[1,0,1] neg_lo:[0,0,1] neg_hi:[0,0,1]
	ds_write2_b64 v89, v[20:21], v[6:7] offset1:1
	v_pk_add_f32 v[6:7], v[22:23], v[40:41] neg_lo:[0,1] neg_hi:[0,1]
	v_pk_fma_f32 v[24:25], v[4:5], 2.0, v[26:27] op_sel_hi:[1,0,1] neg_lo:[0,0,1] neg_hi:[0,0,1]
	v_pk_add_f32 v[4:5], v[14:15], v[8:9] neg_lo:[0,1] neg_hi:[0,1]
	v_pk_fma_f32 v[8:9], v[22:23], 2.0, v[6:7] op_sel_hi:[1,0,1] neg_lo:[0,0,1] neg_hi:[0,0,1]
	v_lshl_add_u32 v91, v66, 4, 0
	ds_write2_b64 v91, v[8:9], v[6:7] offset1:1
	v_pk_fma_f32 v[6:7], v[14:15], 2.0, v[4:5] op_sel_hi:[1,0,1] neg_lo:[0,0,1] neg_hi:[0,0,1]
	v_pk_add_f32 v[8:9], v[12:13], v[38:39] neg_lo:[0,1] neg_hi:[0,1]
	v_pk_add_f32 v[14:15], v[16:17], v[42:43] neg_lo:[0,1] neg_hi:[0,1]
	v_pk_fma_f32 v[10:11], v[12:13], 2.0, v[8:9] op_sel_hi:[1,0,1] neg_lo:[0,0,1] neg_hi:[0,0,1]
	v_lshl_add_u32 v94, v64, 4, 0
	v_lshl_add_u32 v92, v62, 4, 0
	v_pk_add_f32 v[12:13], v[18:19], v[36:37] neg_lo:[0,1] neg_hi:[0,1]
	v_lshl_add_u32 v93, v60, 4, 0
	v_lshl_add_u32 v90, v58, 4, 0
	v_pk_fma_f32 v[16:17], v[16:17], 2.0, v[14:15] op_sel_hi:[1,0,1] neg_lo:[0,0,1] neg_hi:[0,0,1]
	v_cmp_gt_u32_e64 s[0:1], 28, v50
	v_pk_fma_f32 v[18:19], v[18:19], 2.0, v[12:13] op_sel_hi:[1,0,1] neg_lo:[0,0,1] neg_hi:[0,0,1]
	ds_write2_b64 v94, v[16:17], v[14:15] offset1:1
	ds_write2_b64 v92, v[18:19], v[12:13] offset1:1
	;; [unrolled: 1-line block ×4, first 2 shown]
	s_and_saveexec_b64 s[2:3], s[0:1]
	s_cbranch_execz .LBB0_15
; %bb.14:
	v_lshl_add_u32 v3, v56, 4, 0
	ds_write2_b64 v3, v[24:25], v[26:27] offset1:1
.LBB0_15:
	s_or_b64 exec, exec, s[2:3]
	v_lshlrev_b32_e32 v41, 3, v72
	v_lshlrev_b32_e32 v95, 3, v70
	v_lshlrev_b32_e32 v97, 3, v68
	v_lshlrev_b32_e32 v98, 3, v66
	v_lshlrev_b32_e32 v40, 3, v74
	v_sub_u32_e32 v4, v87, v41
	v_sub_u32_e32 v5, v88, v95
	;; [unrolled: 1-line block ×4, first 2 shown]
	v_lshlrev_b32_e32 v99, 3, v64
	v_lshlrev_b32_e32 v106, 3, v62
	;; [unrolled: 1-line block ×4, first 2 shown]
	s_waitcnt lgkmcnt(0)
	; wave barrier
	s_waitcnt lgkmcnt(0)
	v_sub_u32_e32 v3, v63, v40
	ds_read_b64 v[44:45], v4
	ds_read_b64 v[42:43], v5
	;; [unrolled: 1-line block ×4, first 2 shown]
	v_sub_u32_e32 v4, v94, v99
	v_sub_u32_e32 v5, v92, v106
	;; [unrolled: 1-line block ×4, first 2 shown]
	v_lshl_add_u32 v61, v54, 3, 0
	v_lshl_add_u32 v59, v76, 3, 0
	v_add_u32_e32 v55, 0x2400, v57
	ds_read_b64 v[36:37], v4
	ds_read_b64 v[32:33], v5
	;; [unrolled: 1-line block ×8, first 2 shown]
	ds_read2_b64 v[20:23], v0 offset0:188 offset1:244
	ds_read2_b64 v[16:19], v2 offset0:44 offset1:100
	;; [unrolled: 1-line block ×6, first 2 shown]
	v_lshlrev_b32_e32 v75, 1, v54
	v_lshlrev_b32_e32 v77, 1, v76
	v_lshlrev_b32_e32 v84, 1, v74
	v_lshlrev_b32_e32 v85, 1, v72
	v_lshlrev_b32_e32 v86, 1, v70
	v_lshlrev_b32_e32 v73, 1, v68
	v_lshlrev_b32_e32 v71, 1, v66
	v_lshlrev_b32_e32 v69, 1, v64
	v_lshlrev_b32_e32 v67, 1, v62
	v_lshlrev_b32_e32 v65, 1, v60
	v_lshlrev_b32_e32 v55, 1, v58
	v_lshl_add_u32 v96, v56, 3, 0
	s_and_saveexec_b64 s[2:3], s[0:1]
	s_cbranch_execz .LBB0_17
; %bb.16:
	ds_read_b64 v[24:25], v96
	ds_read_b64 v[26:27], v57 offset:10976
.LBB0_17:
	s_or_b64 exec, exec, s[2:3]
	v_sub_u32_e32 v100, 0, v99
	v_sub_u32_e32 v99, 0, v106
	v_and_b32_e32 v106, 1, v50
	v_sub_u32_e32 v105, 0, v40
	v_lshlrev_b32_e32 v40, 3, v106
	v_sub_u32_e32 v104, 0, v41
	global_load_dwordx2 v[40:41], v40, s[8:9]
	v_sub_u32_e32 v102, 0, v97
	v_sub_u32_e32 v97, 0, v108
	;; [unrolled: 1-line block ×3, first 2 shown]
	v_lshlrev_b32_e32 v95, 1, v50
	s_movk_i32 s2, 0x7c
	v_sub_u32_e32 v101, 0, v98
	v_sub_u32_e32 v98, 0, v107
	v_and_or_b32 v107, v95, s2, v106
	v_lshl_add_u32 v107, v107, 3, 0
	s_movk_i32 s2, 0xfc
	s_waitcnt lgkmcnt(0)
	; wave barrier
	s_waitcnt lgkmcnt(0)
	s_movk_i32 s3, 0x2fc
	s_waitcnt vmcnt(0)
	v_pk_mul_f32 v[108:109], v[26:27], v[40:41] op_sel:[1,0]
	s_nop 0
	v_pk_fma_f32 v[110:111], v[26:27], v[40:41], v[108:109] op_sel:[0,0,1] op_sel_hi:[0,1,0] neg_lo:[1,0,0] neg_hi:[1,0,0]
	v_pk_fma_f32 v[26:27], v[26:27], v[40:41], v[108:109] op_sel:[0,0,1] op_sel_hi:[0,1,0]
	v_pk_mul_f32 v[108:109], v[40:41], v[20:21] op_sel:[0,1]
	v_mov_b32_e32 v27, v111
	v_pk_fma_f32 v[110:111], v[40:41], v[20:21], v[108:109] op_sel:[0,0,1] op_sel_hi:[1,1,0]
	v_pk_fma_f32 v[20:21], v[40:41], v[20:21], v[108:109] op_sel:[0,0,1] op_sel_hi:[1,0,0] neg_lo:[1,0,0] neg_hi:[1,0,0]
	v_pk_add_f32 v[26:27], v[24:25], v[26:27] neg_lo:[0,1] neg_hi:[0,1]
	v_mov_b32_e32 v111, v21
	v_pk_add_f32 v[20:21], v[82:83], v[110:111] neg_lo:[0,1] neg_hi:[0,1]
	v_pk_fma_f32 v[24:25], v[24:25], 2.0, v[26:27] op_sel_hi:[1,0,1] neg_lo:[0,0,1] neg_hi:[0,0,1]
	v_pk_fma_f32 v[82:83], v[82:83], 2.0, v[20:21] op_sel_hi:[1,0,1] neg_lo:[0,0,1] neg_hi:[0,0,1]
	ds_write2_b64 v107, v[82:83], v[20:21] offset1:2
	v_and_or_b32 v20, v75, s2, v106
	v_lshl_add_u32 v107, v20, 3, 0
	v_pk_mul_f32 v[20:21], v[40:41], v[22:23] op_sel:[0,1]
	s_movk_i32 s2, 0x1fc
	v_pk_fma_f32 v[82:83], v[40:41], v[22:23], v[20:21] op_sel:[0,0,1] op_sel_hi:[1,1,0]
	v_pk_fma_f32 v[20:21], v[40:41], v[22:23], v[20:21] op_sel:[0,0,1] op_sel_hi:[1,0,0] neg_lo:[1,0,0] neg_hi:[1,0,0]
	s_nop 0
	v_mov_b32_e32 v83, v21
	v_pk_add_f32 v[20:21], v[80:81], v[82:83] neg_lo:[0,1] neg_hi:[0,1]
	v_lshlrev_b32_e32 v82, 1, v56
	v_pk_fma_f32 v[22:23], v[80:81], 2.0, v[20:21] op_sel_hi:[1,0,1] neg_lo:[0,0,1] neg_hi:[0,0,1]
	ds_write2_b64 v107, v[22:23], v[20:21] offset1:2
	v_and_or_b32 v20, v77, s2, v106
	v_lshl_add_u32 v80, v20, 3, 0
	v_pk_mul_f32 v[20:21], v[40:41], v[16:17] op_sel:[0,1]
	s_nop 0
	v_pk_fma_f32 v[22:23], v[40:41], v[16:17], v[20:21] op_sel:[0,0,1] op_sel_hi:[1,1,0]
	v_pk_fma_f32 v[16:17], v[40:41], v[16:17], v[20:21] op_sel:[0,0,1] op_sel_hi:[1,0,0] neg_lo:[1,0,0] neg_hi:[1,0,0]
	s_nop 0
	v_mov_b32_e32 v23, v17
	v_pk_add_f32 v[16:17], v[78:79], v[22:23] neg_lo:[0,1] neg_hi:[0,1]
	s_nop 0
	v_pk_fma_f32 v[20:21], v[78:79], 2.0, v[16:17] op_sel_hi:[1,0,1] neg_lo:[0,0,1] neg_hi:[0,0,1]
	ds_write2_b64 v80, v[20:21], v[16:17] offset1:2
	v_and_or_b32 v16, v84, s2, v106
	v_lshl_add_u32 v22, v16, 3, 0
	v_pk_mul_f32 v[16:17], v[40:41], v[18:19] op_sel:[0,1]
	s_movk_i32 s2, 0x3fc
	v_pk_fma_f32 v[20:21], v[40:41], v[18:19], v[16:17] op_sel:[0,0,1] op_sel_hi:[1,1,0]
	v_pk_fma_f32 v[16:17], v[40:41], v[18:19], v[16:17] op_sel:[0,0,1] op_sel_hi:[1,0,0] neg_lo:[1,0,0] neg_hi:[1,0,0]
	s_nop 0
	v_mov_b32_e32 v21, v17
	v_pk_add_f32 v[16:17], v[46:47], v[20:21] neg_lo:[0,1] neg_hi:[0,1]
	s_nop 0
	v_pk_fma_f32 v[18:19], v[46:47], 2.0, v[16:17] op_sel_hi:[1,0,1] neg_lo:[0,0,1] neg_hi:[0,0,1]
	ds_write2_b64 v22, v[18:19], v[16:17] offset1:2
	v_and_or_b32 v16, v85, s2, v106
	v_lshl_add_u32 v20, v16, 3, 0
	v_pk_mul_f32 v[16:17], v[40:41], v[12:13] op_sel:[0,1]
	s_nop 0
	v_pk_fma_f32 v[18:19], v[40:41], v[12:13], v[16:17] op_sel:[0,0,1] op_sel_hi:[1,1,0]
	v_pk_fma_f32 v[12:13], v[40:41], v[12:13], v[16:17] op_sel:[0,0,1] op_sel_hi:[1,0,0] neg_lo:[1,0,0] neg_hi:[1,0,0]
	s_nop 0
	v_mov_b32_e32 v19, v13
	v_pk_add_f32 v[12:13], v[44:45], v[18:19] neg_lo:[0,1] neg_hi:[0,1]
	s_nop 0
	v_pk_fma_f32 v[16:17], v[44:45], 2.0, v[12:13] op_sel_hi:[1,0,1] neg_lo:[0,0,1] neg_hi:[0,0,1]
	ds_write2_b64 v20, v[16:17], v[12:13] offset1:2
	v_and_or_b32 v12, v86, s3, v106
	v_lshl_add_u32 v18, v12, 3, 0
	v_pk_mul_f32 v[12:13], v[40:41], v[14:15] op_sel:[0,1]
	s_nop 0
	;; [unrolled: 12-line block ×4, first 2 shown]
	v_pk_fma_f32 v[12:13], v[40:41], v[10:11], v[8:9] op_sel:[0,0,1] op_sel_hi:[1,1,0]
	v_pk_fma_f32 v[8:9], v[40:41], v[10:11], v[8:9] op_sel:[0,0,1] op_sel_hi:[1,0,0] neg_lo:[1,0,0] neg_hi:[1,0,0]
	s_nop 0
	v_mov_b32_e32 v13, v9
	v_pk_add_f32 v[8:9], v[34:35], v[12:13] neg_lo:[0,1] neg_hi:[0,1]
	s_nop 0
	v_pk_fma_f32 v[10:11], v[34:35], 2.0, v[8:9] op_sel_hi:[1,0,1] neg_lo:[0,0,1] neg_hi:[0,0,1]
	ds_write2_b64 v14, v[10:11], v[8:9] offset1:2
	v_and_or_b32 v8, v69, s2, v106
	v_lshl_add_u32 v12, v8, 3, 0
	v_pk_mul_f32 v[8:9], v[40:41], v[4:5] op_sel:[0,1]
	s_movk_i32 s2, 0x7fc
	v_pk_fma_f32 v[10:11], v[40:41], v[4:5], v[8:9] op_sel:[0,0,1] op_sel_hi:[1,1,0]
	v_pk_fma_f32 v[4:5], v[40:41], v[4:5], v[8:9] op_sel:[0,0,1] op_sel_hi:[1,0,0] neg_lo:[1,0,0] neg_hi:[1,0,0]
	s_nop 0
	v_mov_b32_e32 v11, v5
	v_pk_add_f32 v[4:5], v[36:37], v[10:11] neg_lo:[0,1] neg_hi:[0,1]
	s_nop 0
	v_pk_fma_f32 v[8:9], v[36:37], 2.0, v[4:5] op_sel_hi:[1,0,1] neg_lo:[0,0,1] neg_hi:[0,0,1]
	ds_write2_b64 v12, v[8:9], v[4:5] offset1:2
	v_and_or_b32 v4, v67, s2, v106
	v_lshl_add_u32 v10, v4, 3, 0
	v_pk_mul_f32 v[4:5], v[40:41], v[6:7] op_sel:[0,1]
	s_movk_i32 s2, 0x4fc
	;; [unrolled: 12-line block ×3, first 2 shown]
	v_pk_fma_f32 v[6:7], v[40:41], v[0:1], v[4:5] op_sel:[0,0,1] op_sel_hi:[1,1,0]
	v_pk_fma_f32 v[0:1], v[40:41], v[0:1], v[4:5] op_sel:[0,0,1] op_sel_hi:[1,0,0] neg_lo:[1,0,0] neg_hi:[1,0,0]
	s_nop 0
	v_mov_b32_e32 v7, v1
	v_pk_add_f32 v[0:1], v[30:31], v[6:7] neg_lo:[0,1] neg_hi:[0,1]
	s_nop 0
	v_pk_fma_f32 v[4:5], v[30:31], 2.0, v[0:1] op_sel_hi:[1,0,1] neg_lo:[0,0,1] neg_hi:[0,0,1]
	ds_write2_b64 v8, v[4:5], v[0:1] offset1:2
	v_and_or_b32 v0, v55, s2, v106
	v_lshl_add_u32 v6, v0, 3, 0
	v_pk_mul_f32 v[0:1], v[40:41], v[2:3] op_sel:[0,1]
	s_nop 0
	v_pk_fma_f32 v[4:5], v[40:41], v[2:3], v[0:1] op_sel:[0,0,1] op_sel_hi:[1,1,0]
	v_pk_fma_f32 v[0:1], v[40:41], v[2:3], v[0:1] op_sel:[0,0,1] op_sel_hi:[1,0,0] neg_lo:[1,0,0] neg_hi:[1,0,0]
	s_nop 0
	v_mov_b32_e32 v5, v1
	v_pk_add_f32 v[0:1], v[28:29], v[4:5] neg_lo:[0,1] neg_hi:[0,1]
	s_nop 0
	v_pk_fma_f32 v[2:3], v[28:29], 2.0, v[0:1] op_sel_hi:[1,0,1] neg_lo:[0,0,1] neg_hi:[0,0,1]
	ds_write2_b64 v6, v[2:3], v[0:1] offset1:2
	s_and_saveexec_b64 s[2:3], s[0:1]
	s_cbranch_execz .LBB0_19
; %bb.18:
	s_movk_i32 s4, 0x57c
	v_and_or_b32 v0, v82, s4, v106
	v_lshl_add_u32 v0, v0, 3, 0
	ds_write2_b64 v0, v[24:25], v[26:27] offset1:2
.LBB0_19:
	s_or_b64 exec, exec, s[2:3]
	v_add_u32_e32 v0, 0x1000, v57
	v_add_u32_e32 v4, 0x1800, v57
	s_waitcnt lgkmcnt(0)
	; wave barrier
	s_waitcnt lgkmcnt(0)
	ds_read2_b64 v[0:3], v0 offset0:188 offset1:244
	ds_read2_b64 v[12:15], v4 offset0:44 offset1:100
	v_add_u32_e32 v63, v63, v105
	ds_read_b64 v[32:33], v57
	ds_read_b64 v[34:35], v61
	ds_read_b64 v[36:37], v59
	ds_read_b64 v[38:39], v63
	v_add_u32_e32 v104, v87, v104
	ds_read2_b64 v[16:19], v4 offset0:156 offset1:212
	v_add_u32_e32 v4, 0x2000, v57
	v_add_u32_e32 v103, v88, v103
	;; [unrolled: 1-line block ×3, first 2 shown]
	ds_read2_b64 v[20:23], v4 offset0:12 offset1:68
	v_add_u32_e32 v101, v91, v101
	ds_read_b64 v[44:45], v104
	ds_read_b64 v[46:47], v103
	;; [unrolled: 1-line block ×4, first 2 shown]
	v_add_u32_e32 v100, v94, v100
	ds_read2_b64 v[8:11], v4 offset0:124 offset1:180
	v_add_u32_e32 v4, 0x2400, v57
	v_add_u32_e32 v99, v92, v99
	;; [unrolled: 1-line block ×3, first 2 shown]
	ds_read2_b64 v[4:7], v4 offset0:108 offset1:164
	v_add_u32_e32 v97, v90, v97
	ds_read_b64 v[42:43], v100
	ds_read_b64 v[40:41], v99
	;; [unrolled: 1-line block ×4, first 2 shown]
	s_and_saveexec_b64 s[2:3], s[0:1]
	s_cbranch_execz .LBB0_21
; %bb.20:
	ds_read_b64 v[24:25], v96
	ds_read_b64 v[26:27], v57 offset:10976
.LBB0_21:
	s_or_b64 exec, exec, s[2:3]
	v_and_b32_e32 v83, 3, v50
	v_lshlrev_b32_e32 v87, 3, v83
	global_load_dwordx2 v[88:89], v87, s[8:9] offset:16
	s_movk_i32 s2, 0x78
	s_movk_i32 s4, 0x1f8
	;; [unrolled: 1-line block ×4, first 2 shown]
	v_and_or_b32 v87, v95, s2, v83
	v_and_or_b32 v84, v84, s4, v83
	;; [unrolled: 1-line block ×4, first 2 shown]
	v_lshl_add_u32 v105, v87, 3, 0
	v_lshl_add_u32 v116, v84, 3, 0
	;; [unrolled: 1-line block ×4, first 2 shown]
	s_movk_i32 s3, 0xf8
	v_and_or_b32 v75, v75, s3, v83
	v_and_or_b32 v77, v77, s4, v83
	v_and_or_b32 v73, v73, s5, v83
	v_and_or_b32 v71, v71, s5, v83
	s_waitcnt lgkmcnt(0)
	; wave barrier
	s_waitcnt lgkmcnt(0)
	v_lshl_add_u32 v75, v75, 3, 0
	v_lshl_add_u32 v77, v77, 3, 0
	;; [unrolled: 1-line block ×4, first 2 shown]
	v_and_or_b32 v69, v69, s5, v83
	s_movk_i32 s2, 0x7f8
	s_waitcnt vmcnt(0)
	v_pk_mul_f32 v[84:85], v[26:27], v[88:89] op_sel:[1,0]
	v_pk_mul_f32 v[86:87], v[88:89], v[0:1] op_sel:[0,1]
	;; [unrolled: 1-line block ×9, first 2 shown]
	v_pk_fma_f32 v[114:115], v[26:27], v[88:89], v[84:85] op_sel:[0,0,1] op_sel_hi:[0,1,0] neg_lo:[1,0,0] neg_hi:[1,0,0]
	v_pk_fma_f32 v[26:27], v[26:27], v[88:89], v[84:85] op_sel:[0,0,1] op_sel_hi:[0,1,0]
	v_pk_fma_f32 v[84:85], v[88:89], v[0:1], v[86:87] op_sel:[0,0,1] op_sel_hi:[1,1,0]
	v_pk_fma_f32 v[0:1], v[88:89], v[0:1], v[86:87] op_sel:[0,0,1] op_sel_hi:[1,0,0] neg_lo:[1,0,0] neg_hi:[1,0,0]
	v_pk_fma_f32 v[86:87], v[88:89], v[2:3], v[90:91] op_sel:[0,0,1] op_sel_hi:[1,1,0]
	v_pk_fma_f32 v[2:3], v[88:89], v[2:3], v[90:91] op_sel:[0,0,1] op_sel_hi:[1,0,0] neg_lo:[1,0,0] neg_hi:[1,0,0]
	;; [unrolled: 2-line block ×8, first 2 shown]
	v_mov_b32_e32 v85, v1
	v_mov_b32_e32 v27, v115
	v_mov_b32_e32 v87, v3
	v_mov_b32_e32 v91, v13
	v_mov_b32_e32 v93, v15
	v_mov_b32_e32 v95, v17
	v_mov_b32_e32 v107, v19
	v_mov_b32_e32 v109, v21
	v_mov_b32_e32 v111, v23
	v_pk_add_f32 v[0:1], v[32:33], v[84:85] neg_lo:[0,1] neg_hi:[0,1]
	v_pk_add_f32 v[2:3], v[24:25], v[26:27] neg_lo:[0,1] neg_hi:[0,1]
	;; [unrolled: 1-line block ×9, first 2 shown]
	v_pk_fma_f32 v[32:33], v[32:33], 2.0, v[0:1] op_sel_hi:[1,0,1] neg_lo:[0,0,1] neg_hi:[0,0,1]
	v_pk_fma_f32 v[34:35], v[34:35], 2.0, v[12:13] op_sel_hi:[1,0,1] neg_lo:[0,0,1] neg_hi:[0,0,1]
	;; [unrolled: 1-line block ×8, first 2 shown]
	ds_write2_b64 v105, v[32:33], v[0:1] offset1:4
	ds_write2_b64 v75, v[34:35], v[12:13] offset1:4
	;; [unrolled: 1-line block ×8, first 2 shown]
	v_pk_mul_f32 v[0:1], v[88:89], v[8:9] op_sel:[0,1]
	v_lshl_add_u32 v14, v69, 3, 0
	v_pk_fma_f32 v[12:13], v[88:89], v[8:9], v[0:1] op_sel:[0,0,1] op_sel_hi:[1,1,0]
	v_pk_fma_f32 v[0:1], v[88:89], v[8:9], v[0:1] op_sel:[0,0,1] op_sel_hi:[1,0,0] neg_lo:[1,0,0] neg_hi:[1,0,0]
	s_nop 0
	v_mov_b32_e32 v13, v1
	v_pk_add_f32 v[0:1], v[42:43], v[12:13] neg_lo:[0,1] neg_hi:[0,1]
	s_nop 0
	v_pk_fma_f32 v[8:9], v[42:43], 2.0, v[0:1] op_sel_hi:[1,0,1] neg_lo:[0,0,1] neg_hi:[0,0,1]
	ds_write2_b64 v14, v[8:9], v[0:1] offset1:4
	v_and_or_b32 v0, v67, s2, v83
	v_lshl_add_u32 v12, v0, 3, 0
	v_pk_mul_f32 v[0:1], v[88:89], v[10:11] op_sel:[0,1]
	s_movk_i32 s2, 0x4f8
	v_pk_fma_f32 v[8:9], v[88:89], v[10:11], v[0:1] op_sel:[0,0,1] op_sel_hi:[1,1,0]
	v_pk_fma_f32 v[0:1], v[88:89], v[10:11], v[0:1] op_sel:[0,0,1] op_sel_hi:[1,0,0] neg_lo:[1,0,0] neg_hi:[1,0,0]
	s_nop 0
	v_mov_b32_e32 v9, v1
	v_pk_add_f32 v[0:1], v[40:41], v[8:9] neg_lo:[0,1] neg_hi:[0,1]
	s_nop 0
	v_pk_fma_f32 v[8:9], v[40:41], 2.0, v[0:1] op_sel_hi:[1,0,1] neg_lo:[0,0,1] neg_hi:[0,0,1]
	ds_write2_b64 v12, v[8:9], v[0:1] offset1:4
	v_and_or_b32 v0, v65, s2, v83
	v_lshl_add_u32 v10, v0, 3, 0
	v_pk_mul_f32 v[0:1], v[88:89], v[4:5] op_sel:[0,1]
	s_movk_i32 s2, 0x5f8
	v_pk_fma_f32 v[8:9], v[88:89], v[4:5], v[0:1] op_sel:[0,0,1] op_sel_hi:[1,1,0]
	v_pk_fma_f32 v[0:1], v[88:89], v[4:5], v[0:1] op_sel:[0,0,1] op_sel_hi:[1,0,0] neg_lo:[1,0,0] neg_hi:[1,0,0]
	s_nop 0
	v_mov_b32_e32 v9, v1
	v_pk_add_f32 v[0:1], v[30:31], v[8:9] neg_lo:[0,1] neg_hi:[0,1]
	s_nop 0
	v_pk_fma_f32 v[4:5], v[30:31], 2.0, v[0:1] op_sel_hi:[1,0,1] neg_lo:[0,0,1] neg_hi:[0,0,1]
	ds_write2_b64 v10, v[4:5], v[0:1] offset1:4
	v_and_or_b32 v0, v55, s2, v83
	v_lshl_add_u32 v8, v0, 3, 0
	v_pk_mul_f32 v[0:1], v[88:89], v[6:7] op_sel:[0,1]
	s_nop 0
	v_pk_fma_f32 v[4:5], v[88:89], v[6:7], v[0:1] op_sel:[0,0,1] op_sel_hi:[1,1,0]
	v_pk_fma_f32 v[0:1], v[88:89], v[6:7], v[0:1] op_sel:[0,0,1] op_sel_hi:[1,0,0] neg_lo:[1,0,0] neg_hi:[1,0,0]
	s_nop 0
	v_mov_b32_e32 v5, v1
	v_pk_add_f32 v[0:1], v[28:29], v[4:5] neg_lo:[0,1] neg_hi:[0,1]
	s_nop 0
	v_pk_fma_f32 v[4:5], v[28:29], 2.0, v[0:1] op_sel_hi:[1,0,1] neg_lo:[0,0,1] neg_hi:[0,0,1]
	ds_write2_b64 v8, v[4:5], v[0:1] offset1:4
	s_and_saveexec_b64 s[2:3], s[0:1]
	s_cbranch_execz .LBB0_23
; %bb.22:
	s_movk_i32 s4, 0x578
	v_and_or_b32 v0, v82, s4, v83
	v_lshl_add_u32 v4, v0, 3, 0
	v_pk_fma_f32 v[0:1], v[24:25], 2.0, v[2:3] op_sel_hi:[1,0,1] neg_lo:[0,0,1] neg_hi:[0,0,1]
	ds_write2_b64 v4, v[0:1], v[2:3] offset1:4
.LBB0_23:
	s_or_b64 exec, exec, s[2:3]
	v_and_b32_e32 v65, 7, v50
	v_lshlrev_b32_e32 v0, 5, v65
	s_waitcnt lgkmcnt(0)
	; wave barrier
	s_waitcnt lgkmcnt(0)
	global_load_dwordx4 v[4:7], v0, s[8:9] offset:64
	global_load_dwordx4 v[8:11], v0, s[8:9] offset:48
	ds_read_b64 v[0:1], v98
	ds_read_b64 v[20:21], v103
	;; [unrolled: 1-line block ×3, first 2 shown]
	v_add_u32_e32 v67, 0x800, v57
	v_add_u32_e32 v16, 0x1400, v57
	v_add_u32_e32 v69, 0x2000, v57
	v_add_u32_e32 v17, 0x2800, v57
	ds_read_b64 v[14:15], v63
	ds_read_b64 v[18:19], v59
	;; [unrolled: 1-line block ×4, first 2 shown]
	ds_read2_b64 v[26:29], v67 offset0:192 offset1:248
	ds_read2_b64 v[30:33], v16 offset0:88 offset1:144
	;; [unrolled: 1-line block ×4, first 2 shown]
	v_lshrrev_b32_e32 v22, 3, v50
	v_lshrrev_b32_e32 v23, 3, v54
	;; [unrolled: 1-line block ×4, first 2 shown]
	v_add_u32_e32 v55, 0x1800, v57
	v_add_u32_e32 v71, 0x1000, v57
	v_mul_u32_u24_e32 v16, 40, v22
	v_mul_lo_u32 v17, v23, 40
	v_mul_lo_u32 v22, v24, 40
	;; [unrolled: 1-line block ×3, first 2 shown]
	ds_read2_b64 v[42:45], v55 offset0:184 offset1:240
	ds_read2_b64 v[80:83], v67 offset0:80 offset1:136
	ds_read2_b64 v[84:87], v71 offset0:104 offset1:160
	ds_read2_b64 v[88:91], v69 offset0:152 offset1:208
	ds_read2_b64 v[92:95], v55 offset0:72 offset1:128
	v_or_b32_e32 v22, v22, v65
	v_or_b32_e32 v23, v23, v65
	;; [unrolled: 1-line block ×4, first 2 shown]
	v_lshl_add_u32 v77, v22, 3, 0
	v_lshl_add_u32 v105, v23, 3, 0
	;; [unrolled: 1-line block ×4, first 2 shown]
	s_mov_b32 s4, 0x3f737871
	s_mov_b32 s12, 0x3f167918
	;; [unrolled: 1-line block ×3, first 2 shown]
	s_waitcnt lgkmcnt(0)
	; wave barrier
	s_waitcnt vmcnt(1) lgkmcnt(0)
	v_pk_mul_f32 v[22:23], v[34:35], v[4:5] op_sel:[0,1]
	v_mov_b32_e32 v78, v7
	v_pk_mul_f32 v[24:25], v[44:45], v[4:5] op_sel:[0,1]
	v_pk_mul_f32 v[108:109], v[42:43], v[4:5] op_sel:[0,1]
	v_pk_fma_f32 v[16:17], v[34:35], v[4:5], v[22:23] op_sel:[0,0,1] op_sel_hi:[1,1,0]
	v_pk_fma_f32 v[34:35], v[34:35], v[4:5], v[22:23] op_sel:[0,0,1] op_sel_hi:[1,0,0] neg_lo:[0,0,1] neg_hi:[0,0,1]
	v_pk_fma_f32 v[22:23], v[44:45], v[4:5], v[24:25] op_sel:[0,0,1] op_sel_hi:[1,1,0]
	v_pk_fma_f32 v[24:25], v[44:45], v[4:5], v[24:25] op_sel:[0,0,1] op_sel_hi:[1,0,0] neg_lo:[0,0,1] neg_hi:[0,0,1]
	v_pk_mul_f32 v[44:45], v[38:39], v[78:79] op_sel_hi:[1,0]
	s_waitcnt vmcnt(0)
	v_pk_mul_f32 v[112:113], v[8:9], v[20:21] op_sel:[0,1]
	v_pk_mul_f32 v[116:117], v[40:41], v[78:79] op_sel_hi:[1,0]
	v_pk_fma_f32 v[118:119], v[42:43], v[4:5], v[108:109] op_sel:[0,0,1] op_sel_hi:[1,1,0]
	v_pk_fma_f32 v[42:43], v[42:43], v[4:5], v[108:109] op_sel:[0,0,1] op_sel_hi:[1,0,0] neg_lo:[0,0,1] neg_hi:[0,0,1]
	v_pk_mul_f32 v[108:109], v[90:91], v[78:79] op_sel_hi:[1,0]
	v_mov_b32_e32 v23, v25
	v_pk_fma_f32 v[24:25], v[38:39], v[6:7], v[44:45] op_sel:[0,0,1] op_sel_hi:[1,1,0]
	v_pk_fma_f32 v[38:39], v[38:39], v[6:7], v[44:45] op_sel:[0,0,1] op_sel_hi:[1,0,0] neg_lo:[0,0,1] neg_hi:[0,0,1]
	v_pk_mul_f32 v[110:111], v[94:95], v[4:5] op_sel:[0,1]
	v_pk_fma_f32 v[122:123], v[8:9], v[20:21], v[112:113] op_sel:[0,0,1] op_sel_hi:[1,1,0]
	v_pk_fma_f32 v[112:113], v[8:9], v[20:21], v[112:113] op_sel:[0,0,1] op_sel_hi:[1,0,0] neg_lo:[1,0,0] neg_hi:[1,0,0]
	v_mov_b32_e32 v17, v35
	v_pk_fma_f32 v[20:21], v[40:41], v[6:7], v[116:117] op_sel:[0,0,1] op_sel_hi:[1,1,0]
	v_pk_fma_f32 v[34:35], v[40:41], v[6:7], v[116:117] op_sel:[0,0,1] op_sel_hi:[1,0,0] neg_lo:[0,0,1] neg_hi:[0,0,1]
	v_mov_b32_e32 v119, v43
	;; [unrolled: 3-line block ×3, first 2 shown]
	v_pk_mul_f32 v[38:39], v[92:93], v[4:5] op_sel:[0,1]
	v_pk_fma_f32 v[120:121], v[94:95], v[4:5], v[110:111] op_sel:[0,0,1] op_sel_hi:[1,1,0]
	v_pk_fma_f32 v[94:95], v[94:95], v[4:5], v[110:111] op_sel:[0,0,1] op_sel_hi:[1,0,0] neg_lo:[0,0,1] neg_hi:[0,0,1]
	v_mov_b32_e32 v41, v43
	v_pk_fma_f32 v[42:43], v[92:93], v[4:5], v[38:39] op_sel:[0,0,1] op_sel_hi:[1,1,0]
	v_pk_fma_f32 v[4:5], v[92:93], v[4:5], v[38:39] op_sel:[0,0,1] op_sel_hi:[1,0,0] neg_lo:[0,0,1] neg_hi:[0,0,1]
	v_pk_mul_f32 v[114:115], v[10:11], v[0:1] op_sel:[0,1]
	v_mov_b32_e32 v43, v5
	v_pk_mul_f32 v[4:5], v[36:37], v[78:79] op_sel_hi:[1,0]
	v_pk_fma_f32 v[124:125], v[10:11], v[0:1], v[114:115] op_sel:[0,0,1] op_sel_hi:[1,1,0]
	v_pk_fma_f32 v[0:1], v[10:11], v[0:1], v[114:115] op_sel:[0,0,1] op_sel_hi:[1,0,0] neg_lo:[1,0,0] neg_hi:[1,0,0]
	v_mov_b32_e32 v123, v113
	v_pk_fma_f32 v[38:39], v[36:37], v[6:7], v[4:5] op_sel:[0,0,1] op_sel_hi:[1,1,0]
	v_pk_fma_f32 v[4:5], v[36:37], v[6:7], v[4:5] op_sel:[0,0,1] op_sel_hi:[1,0,0] neg_lo:[0,0,1] neg_hi:[0,0,1]
	v_mov_b32_e32 v125, v1
	v_mov_b32_e32 v39, v5
	v_pk_add_f32 v[4:5], v[106:107], v[122:123]
	v_pk_mul_f32 v[110:111], v[88:89], v[78:79] op_sel_hi:[1,0]
	v_pk_add_f32 v[4:5], v[4:5], v[124:125]
	v_pk_fma_f32 v[44:45], v[88:89], v[6:7], v[110:111] op_sel:[0,0,1] op_sel_hi:[1,1,0]
	v_pk_add_f32 v[4:5], v[4:5], v[42:43]
	v_pk_fma_f32 v[88:89], v[88:89], v[6:7], v[110:111] op_sel:[0,0,1] op_sel_hi:[1,0,0] neg_lo:[0,0,1] neg_hi:[0,0,1]
	v_pk_add_f32 v[36:37], v[4:5], v[38:39]
	v_pk_mul_f32 v[4:5], v[28:29], v[8:9] op_sel:[0,1]
	v_mov_b32_e32 v45, v89
	v_pk_fma_f32 v[88:89], v[28:29], v[8:9], v[4:5] op_sel:[0,0,1] op_sel_hi:[1,1,0]
	v_pk_fma_f32 v[4:5], v[28:29], v[8:9], v[4:5] op_sel:[0,0,1] op_sel_hi:[1,0,0] neg_lo:[0,0,1] neg_hi:[0,0,1]
	v_mov_b32_e32 v28, v11
	v_mov_b32_e32 v89, v5
	v_pk_mul_f32 v[4:5], v[32:33], v[28:29] op_sel_hi:[1,0]
	v_mov_b32_e32 v21, v35
	v_pk_fma_f32 v[90:91], v[32:33], v[10:11], v[4:5] op_sel:[0,0,1] op_sel_hi:[1,1,0]
	v_pk_fma_f32 v[4:5], v[32:33], v[10:11], v[4:5] op_sel:[0,0,1] op_sel_hi:[1,0,0] neg_lo:[0,0,1] neg_hi:[0,0,1]
	v_pk_add_f32 v[0:1], v[20:21], v[16:17] neg_lo:[0,1] neg_hi:[0,1]
	v_mov_b32_e32 v91, v5
	v_pk_add_f32 v[4:5], v[90:91], v[16:17]
	v_pk_add_f32 v[6:7], v[88:89], v[20:21] neg_lo:[0,1] neg_hi:[0,1]
	v_pk_fma_f32 v[4:5], v[4:5], 0.5, v[12:13] op_sel_hi:[1,0,1] neg_lo:[1,0,0] neg_hi:[1,0,0]
	v_pk_add_f32 v[78:79], v[88:89], v[90:91] neg_lo:[0,1] neg_hi:[0,1]
	v_pk_add_f32 v[32:33], v[90:91], v[16:17] neg_lo:[0,1] neg_hi:[0,1]
	v_pk_add_f32 v[0:1], v[78:79], v[0:1]
	v_pk_fma_f32 v[78:79], v[6:7], s[4:5], v[4:5] op_sel:[1,0,0] op_sel_hi:[0,0,1] neg_lo:[1,0,0] neg_hi:[1,0,0]
	v_pk_fma_f32 v[4:5], v[6:7], s[4:5], v[4:5] op_sel:[1,0,0] op_sel_hi:[0,0,1]
	v_pk_fma_f32 v[4:5], v[32:33], s[12:13], v[4:5] op_sel:[1,0,0] op_sel_hi:[0,0,1]
	v_pk_fma_f32 v[92:93], v[32:33], s[12:13], v[78:79] op_sel:[1,0,0] op_sel_hi:[0,0,1] neg_lo:[1,0,0] neg_hi:[1,0,0]
	v_mov_b32_e32 v78, v92
	v_mov_b32_e32 v79, v5
	;; [unrolled: 1-line block ×3, first 2 shown]
	v_pk_fma_f32 v[78:79], v[0:1], s[2:3], v[78:79] op_sel_hi:[1,0,1]
	v_pk_fma_f32 v[0:1], v[0:1], s[2:3], v[4:5] op_sel_hi:[1,0,1]
	v_pk_add_f32 v[4:5], v[88:89], v[20:21]
	v_pk_add_f32 v[34:35], v[16:17], v[20:21] neg_lo:[0,1] neg_hi:[0,1]
	v_pk_fma_f32 v[4:5], v[4:5], 0.5, v[12:13] op_sel_hi:[1,0,1] neg_lo:[1,0,0] neg_hi:[1,0,0]
	v_pk_add_f32 v[92:93], v[90:91], v[88:89] neg_lo:[0,1] neg_hi:[0,1]
	v_mov_b32_e32 v121, v95
	v_pk_add_f32 v[34:35], v[92:93], v[34:35]
	v_pk_fma_f32 v[92:93], v[32:33], s[4:5], v[4:5] op_sel:[1,0,0] op_sel_hi:[0,0,1] neg_lo:[1,0,0] neg_hi:[1,0,0]
	v_pk_fma_f32 v[4:5], v[32:33], s[4:5], v[4:5] op_sel:[1,0,0] op_sel_hi:[0,0,1]
	v_pk_fma_f32 v[32:33], v[6:7], s[12:13], v[92:93] op_sel:[1,0,0] op_sel_hi:[0,0,1]
	v_pk_fma_f32 v[6:7], v[6:7], s[12:13], v[4:5] op_sel:[1,0,0] op_sel_hi:[0,0,1] neg_lo:[1,0,0] neg_hi:[1,0,0]
	v_mov_b32_e32 v5, v33
	v_mov_b32_e32 v33, v7
	;; [unrolled: 1-line block ×3, first 2 shown]
	v_pk_fma_f32 v[6:7], v[34:35], s[2:3], v[32:33] op_sel_hi:[1,0,1]
	v_pk_mul_f32 v[32:33], v[26:27], v[8:9] op_sel:[0,1]
	v_pk_fma_f32 v[4:5], v[34:35], s[2:3], v[4:5] op_sel_hi:[1,0,1]
	v_pk_fma_f32 v[34:35], v[26:27], v[8:9], v[32:33] op_sel:[0,0,1] op_sel_hi:[1,1,0]
	v_pk_fma_f32 v[26:27], v[26:27], v[8:9], v[32:33] op_sel:[0,0,1] op_sel_hi:[1,0,0] neg_lo:[0,0,1] neg_hi:[0,0,1]
	v_pk_add_f32 v[110:111], v[122:123], v[124:125] neg_lo:[0,1] neg_hi:[0,1]
	v_mov_b32_e32 v35, v27
	v_pk_mul_f32 v[26:27], v[30:31], v[28:29] op_sel_hi:[1,0]
	v_pk_add_f32 v[112:113], v[38:39], v[42:43] neg_lo:[0,1] neg_hi:[0,1]
	v_pk_fma_f32 v[32:33], v[30:31], v[10:11], v[26:27] op_sel:[0,0,1] op_sel_hi:[1,1,0]
	v_pk_fma_f32 v[26:27], v[30:31], v[10:11], v[26:27] op_sel:[0,0,1] op_sel_hi:[1,0,0] neg_lo:[0,0,1] neg_hi:[0,0,1]
	v_pk_mul_f32 v[30:31], v[82:83], v[8:9] op_sel:[0,1]
	v_pk_add_f32 v[110:111], v[110:111], v[112:113]
	v_pk_fma_f32 v[92:93], v[82:83], v[8:9], v[30:31] op_sel:[0,0,1] op_sel_hi:[1,1,0]
	v_pk_fma_f32 v[30:31], v[82:83], v[8:9], v[30:31] op_sel:[0,0,1] op_sel_hi:[1,0,0] neg_lo:[0,0,1] neg_hi:[0,0,1]
	v_mov_b32_e32 v33, v27
	v_mov_b32_e32 v93, v31
	v_pk_mul_f32 v[30:31], v[86:87], v[28:29] op_sel_hi:[1,0]
	v_pk_add_f32 v[26:27], v[14:15], v[34:35]
	v_pk_fma_f32 v[82:83], v[86:87], v[10:11], v[30:31] op_sel:[0,0,1] op_sel_hi:[1,1,0]
	v_pk_fma_f32 v[30:31], v[86:87], v[10:11], v[30:31] op_sel:[0,0,1] op_sel_hi:[1,0,0] neg_lo:[0,0,1] neg_hi:[0,0,1]
	v_pk_mul_f32 v[86:87], v[80:81], v[8:9] op_sel:[0,1]
	v_mov_b32_e32 v83, v31
	v_pk_fma_f32 v[94:95], v[80:81], v[8:9], v[86:87] op_sel:[0,0,1] op_sel_hi:[1,1,0]
	v_pk_fma_f32 v[8:9], v[80:81], v[8:9], v[86:87] op_sel:[0,0,1] op_sel_hi:[1,0,0] neg_lo:[0,0,1] neg_hi:[0,0,1]
	v_pk_add_f32 v[80:81], v[122:123], v[38:39] neg_lo:[0,1] neg_hi:[0,1]
	v_mov_b32_e32 v95, v9
	v_pk_mul_f32 v[8:9], v[84:85], v[28:29] op_sel_hi:[1,0]
	v_pk_add_f32 v[86:87], v[124:125], v[42:43] neg_lo:[0,1] neg_hi:[0,1]
	v_pk_fma_f32 v[28:29], v[84:85], v[10:11], v[8:9] op_sel:[0,0,1] op_sel_hi:[1,1,0]
	v_pk_fma_f32 v[8:9], v[84:85], v[10:11], v[8:9] op_sel:[0,0,1] op_sel_hi:[1,0,0] neg_lo:[0,0,1] neg_hi:[0,0,1]
	v_pk_add_f32 v[10:11], v[124:125], v[42:43]
	v_pk_mul_f32 v[84:85], v[80:81], s[4:5] op_sel_hi:[1,0]
	v_pk_fma_f32 v[10:11], v[10:11], 0.5, v[106:107] op_sel_hi:[1,0,1] neg_lo:[1,0,0] neg_hi:[1,0,0]
	v_pk_mul_f32 v[108:109], v[86:87], s[12:13] op_sel_hi:[1,0]
	v_pk_add_f32 v[112:113], v[10:11], v[84:85] op_sel:[0,1] op_sel_hi:[1,0] neg_lo:[0,1] neg_hi:[0,1]
	v_pk_add_f32 v[10:11], v[10:11], v[84:85] op_sel:[0,1] op_sel_hi:[1,0]
	v_pk_add_f32 v[84:85], v[112:113], v[108:109] op_sel:[0,1] op_sel_hi:[1,0] neg_lo:[0,1] neg_hi:[0,1]
	v_pk_add_f32 v[10:11], v[10:11], v[108:109] op_sel:[0,1] op_sel_hi:[1,0]
	v_mov_b32_e32 v108, v84
	v_mov_b32_e32 v109, v11
	v_pk_fma_f32 v[108:109], v[110:111], s[2:3], v[108:109] op_sel_hi:[1,0,1]
	ds_write2_b64 v73, v[36:37], v[108:109] offset1:8
	v_pk_add_f32 v[36:37], v[122:123], v[38:39]
	v_pk_add_f32 v[38:39], v[42:43], v[38:39] neg_lo:[0,1] neg_hi:[0,1]
	v_pk_fma_f32 v[36:37], v[36:37], 0.5, v[106:107] op_sel_hi:[1,0,1] neg_lo:[1,0,0] neg_hi:[1,0,0]
	v_pk_mul_f32 v[42:43], v[86:87], s[4:5] op_sel_hi:[1,0]
	v_pk_mul_f32 v[80:81], v[80:81], s[12:13] op_sel_hi:[1,0]
	v_pk_add_f32 v[86:87], v[36:37], v[42:43] op_sel:[0,1] op_sel_hi:[1,0]
	v_pk_add_f32 v[36:37], v[36:37], v[42:43] op_sel:[0,1] op_sel_hi:[1,0] neg_lo:[0,1] neg_hi:[0,1]
	v_pk_add_f32 v[106:107], v[124:125], v[122:123] neg_lo:[0,1] neg_hi:[0,1]
	v_pk_add_f32 v[36:37], v[36:37], v[80:81] op_sel:[0,1] op_sel_hi:[1,0]
	v_pk_add_f32 v[42:43], v[86:87], v[80:81] op_sel:[0,1] op_sel_hi:[1,0] neg_lo:[0,1] neg_hi:[0,1]
	v_pk_add_f32 v[38:39], v[106:107], v[38:39]
	v_mov_b32_e32 v80, v42
	v_mov_b32_e32 v81, v37
	;; [unrolled: 1-line block ×5, first 2 shown]
	v_pk_fma_f32 v[80:81], v[38:39], s[2:3], v[80:81] op_sel_hi:[1,0,1]
	v_pk_fma_f32 v[36:37], v[38:39], s[2:3], v[36:37] op_sel_hi:[1,0,1]
	;; [unrolled: 1-line block ×3, first 2 shown]
	ds_write2_b64 v73, v[80:81], v[36:37] offset0:16 offset1:24
	ds_write_b64 v73, v[10:11] offset:256
	v_pk_add_f32 v[10:11], v[28:29], v[120:121]
	v_pk_add_f32 v[36:37], v[94:95], v[44:45] neg_lo:[0,1] neg_hi:[0,1]
	v_pk_fma_f32 v[10:11], v[10:11], 0.5, v[46:47] op_sel_hi:[1,0,1] neg_lo:[1,0,0] neg_hi:[1,0,0]
	v_pk_mul_f32 v[38:39], v[36:37], s[4:5] op_sel_hi:[1,0]
	v_pk_add_f32 v[42:43], v[28:29], v[120:121] neg_lo:[0,1] neg_hi:[0,1]
	v_pk_add_f32 v[84:85], v[94:95], v[28:29] neg_lo:[0,1] neg_hi:[0,1]
	;; [unrolled: 1-line block ×3, first 2 shown]
	v_pk_add_f32 v[8:9], v[46:47], v[94:95]
	v_pk_mul_f32 v[80:81], v[42:43], s[12:13] op_sel_hi:[1,0]
	v_pk_add_f32 v[84:85], v[84:85], v[86:87]
	v_pk_add_f32 v[86:87], v[10:11], v[38:39] op_sel:[0,1] op_sel_hi:[1,0] neg_lo:[0,1] neg_hi:[0,1]
	v_pk_add_f32 v[10:11], v[10:11], v[38:39] op_sel:[0,1] op_sel_hi:[1,0]
	v_pk_add_f32 v[8:9], v[8:9], v[28:29]
	v_pk_add_f32 v[10:11], v[10:11], v[80:81] op_sel:[0,1] op_sel_hi:[1,0]
	v_pk_add_f32 v[38:39], v[86:87], v[80:81] op_sel:[0,1] op_sel_hi:[1,0] neg_lo:[0,1] neg_hi:[0,1]
	v_pk_add_f32 v[8:9], v[8:9], v[120:121]
	v_mov_b32_e32 v80, v38
	v_mov_b32_e32 v81, v11
	v_pk_add_f32 v[8:9], v[8:9], v[44:45]
	v_pk_fma_f32 v[80:81], v[84:85], s[2:3], v[80:81] op_sel_hi:[1,0,1]
	ds_write2_b64 v75, v[8:9], v[80:81] offset1:8
	v_pk_add_f32 v[8:9], v[94:95], v[44:45]
	v_pk_add_f32 v[28:29], v[28:29], v[94:95] neg_lo:[0,1] neg_hi:[0,1]
	v_pk_fma_f32 v[8:9], v[8:9], 0.5, v[46:47] op_sel_hi:[1,0,1] neg_lo:[1,0,0] neg_hi:[1,0,0]
	v_pk_add_f32 v[44:45], v[120:121], v[44:45] neg_lo:[0,1] neg_hi:[0,1]
	v_pk_mul_f32 v[42:43], v[42:43], s[4:5] op_sel_hi:[1,0]
	v_pk_add_f32 v[28:29], v[28:29], v[44:45]
	v_pk_mul_f32 v[36:37], v[36:37], s[12:13] op_sel_hi:[1,0]
	v_pk_add_f32 v[44:45], v[8:9], v[42:43] op_sel:[0,1] op_sel_hi:[1,0]
	v_pk_add_f32 v[8:9], v[8:9], v[42:43] op_sel:[0,1] op_sel_hi:[1,0] neg_lo:[0,1] neg_hi:[0,1]
	v_mov_b32_e32 v11, v39
	v_pk_add_f32 v[8:9], v[8:9], v[36:37] op_sel:[0,1] op_sel_hi:[1,0]
	v_pk_add_f32 v[36:37], v[44:45], v[36:37] op_sel:[0,1] op_sel_hi:[1,0] neg_lo:[0,1] neg_hi:[0,1]
	v_mov_b32_e32 v43, v9
	v_mov_b32_e32 v42, v36
	;; [unrolled: 1-line block ×3, first 2 shown]
	v_pk_fma_f32 v[42:43], v[28:29], s[2:3], v[42:43] op_sel_hi:[1,0,1]
	v_pk_fma_f32 v[8:9], v[28:29], s[2:3], v[8:9] op_sel_hi:[1,0,1]
	ds_write2_b64 v75, v[42:43], v[8:9] offset0:16 offset1:24
	v_pk_fma_f32 v[8:9], v[84:85], s[2:3], v[10:11] op_sel_hi:[1,0,1]
	ds_write_b64 v75, v[8:9] offset:256
	v_pk_add_f32 v[8:9], v[82:83], v[118:119]
	v_pk_add_f32 v[10:11], v[92:93], v[40:41] neg_lo:[0,1] neg_hi:[0,1]
	v_pk_fma_f32 v[8:9], v[8:9], 0.5, v[18:19] op_sel_hi:[1,0,1] neg_lo:[1,0,0] neg_hi:[1,0,0]
	v_pk_mul_f32 v[28:29], v[10:11], s[4:5] op_sel_hi:[1,0]
	v_pk_add_f32 v[36:37], v[82:83], v[118:119] neg_lo:[0,1] neg_hi:[0,1]
	v_pk_add_f32 v[42:43], v[92:93], v[82:83] neg_lo:[0,1] neg_hi:[0,1]
	v_pk_add_f32 v[44:45], v[40:41], v[118:119] neg_lo:[0,1] neg_hi:[0,1]
	v_pk_add_f32 v[30:31], v[18:19], v[92:93]
	v_pk_mul_f32 v[38:39], v[36:37], s[12:13] op_sel_hi:[1,0]
	v_pk_add_f32 v[42:43], v[42:43], v[44:45]
	v_pk_add_f32 v[44:45], v[8:9], v[28:29] op_sel:[0,1] op_sel_hi:[1,0] neg_lo:[0,1] neg_hi:[0,1]
	v_pk_add_f32 v[8:9], v[8:9], v[28:29] op_sel:[0,1] op_sel_hi:[1,0]
	v_pk_add_f32 v[30:31], v[30:31], v[82:83]
	v_pk_add_f32 v[8:9], v[8:9], v[38:39] op_sel:[0,1] op_sel_hi:[1,0]
	v_pk_add_f32 v[28:29], v[44:45], v[38:39] op_sel:[0,1] op_sel_hi:[1,0] neg_lo:[0,1] neg_hi:[0,1]
	v_pk_add_f32 v[30:31], v[30:31], v[118:119]
	v_mov_b32_e32 v38, v28
	v_mov_b32_e32 v39, v9
	v_pk_add_f32 v[30:31], v[30:31], v[40:41]
	v_pk_fma_f32 v[38:39], v[42:43], s[2:3], v[38:39] op_sel_hi:[1,0,1]
	ds_write2_b64 v77, v[30:31], v[38:39] offset1:8
	v_pk_add_f32 v[30:31], v[92:93], v[40:41]
	v_pk_add_f32 v[38:39], v[118:119], v[40:41] neg_lo:[0,1] neg_hi:[0,1]
	v_pk_fma_f32 v[18:19], v[30:31], 0.5, v[18:19] op_sel_hi:[1,0,1] neg_lo:[1,0,0] neg_hi:[1,0,0]
	v_pk_add_f32 v[30:31], v[82:83], v[92:93] neg_lo:[0,1] neg_hi:[0,1]
	v_pk_mul_f32 v[36:37], v[36:37], s[4:5] op_sel_hi:[1,0]
	v_pk_add_f32 v[30:31], v[30:31], v[38:39]
	v_pk_mul_f32 v[10:11], v[10:11], s[12:13] op_sel_hi:[1,0]
	v_pk_add_f32 v[38:39], v[18:19], v[36:37] op_sel:[0,1] op_sel_hi:[1,0]
	v_pk_add_f32 v[18:19], v[18:19], v[36:37] op_sel:[0,1] op_sel_hi:[1,0] neg_lo:[0,1] neg_hi:[0,1]
	v_mov_b32_e32 v9, v29
	v_pk_add_f32 v[18:19], v[18:19], v[10:11] op_sel:[0,1] op_sel_hi:[1,0]
	v_pk_add_f32 v[10:11], v[38:39], v[10:11] op_sel:[0,1] op_sel_hi:[1,0] neg_lo:[0,1] neg_hi:[0,1]
	v_mov_b32_e32 v37, v19
	v_mov_b32_e32 v36, v10
	;; [unrolled: 1-line block ×3, first 2 shown]
	v_pk_fma_f32 v[36:37], v[30:31], s[2:3], v[36:37] op_sel_hi:[1,0,1]
	v_pk_fma_f32 v[10:11], v[30:31], s[2:3], v[18:19] op_sel_hi:[1,0,1]
	;; [unrolled: 1-line block ×3, first 2 shown]
	ds_write2_b64 v77, v[36:37], v[10:11] offset0:16 offset1:24
	ds_write_b64 v77, v[8:9] offset:256
	v_pk_add_f32 v[8:9], v[32:33], v[22:23]
	v_pk_add_f32 v[10:11], v[34:35], v[24:25] neg_lo:[0,1] neg_hi:[0,1]
	v_pk_fma_f32 v[8:9], v[8:9], 0.5, v[14:15] op_sel_hi:[1,0,1] neg_lo:[1,0,0] neg_hi:[1,0,0]
	v_pk_mul_f32 v[18:19], v[10:11], s[4:5] op_sel_hi:[1,0]
	v_pk_add_f32 v[28:29], v[32:33], v[22:23] neg_lo:[0,1] neg_hi:[0,1]
	v_pk_add_f32 v[36:37], v[34:35], v[32:33] neg_lo:[0,1] neg_hi:[0,1]
	;; [unrolled: 1-line block ×3, first 2 shown]
	v_pk_mul_f32 v[30:31], v[28:29], s[12:13] op_sel_hi:[1,0]
	v_pk_add_f32 v[36:37], v[36:37], v[38:39]
	v_pk_add_f32 v[38:39], v[8:9], v[18:19] op_sel:[0,1] op_sel_hi:[1,0] neg_lo:[0,1] neg_hi:[0,1]
	v_pk_add_f32 v[8:9], v[8:9], v[18:19] op_sel:[0,1] op_sel_hi:[1,0]
	v_pk_add_f32 v[26:27], v[26:27], v[32:33]
	v_pk_add_f32 v[8:9], v[8:9], v[30:31] op_sel:[0,1] op_sel_hi:[1,0]
	v_pk_add_f32 v[18:19], v[38:39], v[30:31] op_sel:[0,1] op_sel_hi:[1,0] neg_lo:[0,1] neg_hi:[0,1]
	v_pk_add_f32 v[26:27], v[26:27], v[22:23]
	v_mov_b32_e32 v30, v18
	v_mov_b32_e32 v31, v9
	v_pk_add_f32 v[26:27], v[26:27], v[24:25]
	v_pk_fma_f32 v[30:31], v[36:37], s[2:3], v[30:31] op_sel_hi:[1,0,1]
	ds_write2_b64 v105, v[26:27], v[30:31] offset1:8
	v_pk_add_f32 v[26:27], v[34:35], v[24:25]
	v_pk_add_f32 v[22:23], v[22:23], v[24:25] neg_lo:[0,1] neg_hi:[0,1]
	v_pk_fma_f32 v[14:15], v[26:27], 0.5, v[14:15] op_sel_hi:[1,0,1] neg_lo:[1,0,0] neg_hi:[1,0,0]
	v_pk_add_f32 v[26:27], v[32:33], v[34:35] neg_lo:[0,1] neg_hi:[0,1]
	v_pk_mul_f32 v[24:25], v[28:29], s[4:5] op_sel_hi:[1,0]
	v_mov_b32_e32 v9, v19
	v_pk_add_f32 v[22:23], v[26:27], v[22:23]
	v_pk_mul_f32 v[10:11], v[10:11], s[12:13] op_sel_hi:[1,0]
	v_pk_add_f32 v[26:27], v[14:15], v[24:25] op_sel:[0,1] op_sel_hi:[1,0]
	v_pk_add_f32 v[14:15], v[14:15], v[24:25] op_sel:[0,1] op_sel_hi:[1,0] neg_lo:[0,1] neg_hi:[0,1]
	v_pk_fma_f32 v[8:9], v[36:37], s[2:3], v[8:9] op_sel_hi:[1,0,1]
	v_pk_add_f32 v[14:15], v[14:15], v[10:11] op_sel:[0,1] op_sel_hi:[1,0]
	v_pk_add_f32 v[10:11], v[26:27], v[10:11] op_sel:[0,1] op_sel_hi:[1,0] neg_lo:[0,1] neg_hi:[0,1]
	ds_write_b64 v105, v[8:9] offset:256
	v_lshrrev_b32_e32 v8, 3, v72
	v_mov_b32_e32 v24, v10
	v_mov_b32_e32 v25, v15
	;; [unrolled: 1-line block ×3, first 2 shown]
	v_mul_lo_u32 v8, v8, 40
	v_pk_fma_f32 v[24:25], v[22:23], s[2:3], v[24:25] op_sel_hi:[1,0,1]
	v_pk_fma_f32 v[10:11], v[22:23], s[2:3], v[14:15] op_sel_hi:[1,0,1]
	v_or_b32_e32 v8, v8, v65
	ds_write2_b64 v105, v[24:25], v[10:11] offset0:16 offset1:24
	v_lshl_add_u32 v10, v8, 3, 0
	v_pk_add_f32 v[8:9], v[12:13], v[88:89]
	v_cmp_gt_u32_e64 s[2:3], 32, v50
	v_pk_add_f32 v[8:9], v[8:9], v[90:91]
	s_nop 0
	v_pk_add_f32 v[8:9], v[8:9], v[16:17]
	s_nop 0
	v_pk_add_f32 v[8:9], v[8:9], v[20:21]
	ds_write2_b64 v10, v[8:9], v[78:79] offset1:8
	ds_write2_b64 v10, v[4:5], v[6:7] offset0:16 offset1:24
	ds_write_b64 v10, v[0:1] offset:256
	s_waitcnt lgkmcnt(0)
	; wave barrier
	s_waitcnt lgkmcnt(0)
	ds_read2_b64 v[12:15], v57 offset1:200
	ds_read2_b64 v[20:23], v67 offset0:144 offset1:200
	ds_read2_b64 v[40:43], v71 offset1:88
	ds_read2_b64 v[36:39], v55 offset0:32 offset1:88
	ds_read2_b64 v[24:27], v55 offset0:144 offset1:232
	;; [unrolled: 1-line block ×3, first 2 shown]
	ds_read2_b64 v[32:35], v67 offset1:56
	ds_read2_b64 v[44:47], v71 offset0:144 offset1:200
	ds_read2_b64 v[28:31], v69 offset0:32 offset1:88
	ds_read_b64 v[82:83], v59
	ds_read_b64 v[84:85], v61
	ds_read_b64 v[86:87], v57 offset:10496
                                        ; implicit-def: $vgpr10
	s_and_saveexec_b64 s[4:5], s[2:3]
	s_cbranch_execz .LBB0_25
; %bb.24:
	v_add_u32_e32 v0, 0xa00, v57
	v_add_u32_e32 v8, 0x2400, v57
	ds_read_b64 v[78:79], v63
	ds_read2_b64 v[4:7], v0 offset0:48 offset1:248
	ds_read2_b64 v[0:3], v55 offset1:200
	ds_read2_b64 v[8:11], v8 offset0:16 offset1:216
.LBB0_25:
	s_or_b64 exec, exec, s[4:5]
	s_movk_i32 s17, 0xcd
	v_subrev_u32_e32 v55, 40, v50
	v_cmp_gt_u32_e64 s[4:5], 40, v50
	v_mul_lo_u16_sdwa v67, v54, s17 dst_sel:DWORD dst_unused:UNUSED_PAD src0_sel:BYTE_0 src1_sel:DWORD
	v_mul_lo_u16_sdwa v69, v76, s17 dst_sel:DWORD dst_unused:UNUSED_PAD src0_sel:BYTE_0 src1_sel:DWORD
	v_cndmask_b32_e64 v55, v55, v50, s[4:5]
	v_lshrrev_b16_e32 v67, 13, v67
	v_lshrrev_b16_e32 v69, 13, v69
	v_mul_i32_i24_e32 v80, 6, v55
	v_mov_b32_e32 v81, 0
	v_mul_lo_u16_e32 v71, 40, v67
	v_mul_lo_u16_e32 v75, 40, v69
	v_lshl_add_u64 v[126:127], v[80:81], 3, s[8:9]
	v_mov_b32_e32 v65, 6
	v_sub_u16_e32 v71, v54, v71
	v_sub_u16_e32 v75, v76, v75
	global_load_dwordx4 v[88:91], v[126:127], off offset:320
	v_mul_u32_u24_sdwa v73, v71, v65 dst_sel:DWORD dst_unused:UNUSED_PAD src0_sel:BYTE_0 src1_sel:DWORD
	v_mul_u32_u24_sdwa v65, v75, v65 dst_sel:DWORD dst_unused:UNUSED_PAD src0_sel:BYTE_0 src1_sel:DWORD
	v_lshlrev_b32_e32 v73, 3, v73
	global_load_dwordx4 v[106:109], v73, s[8:9] offset:320
	v_lshlrev_b32_e32 v65, 3, v65
	global_load_dwordx4 v[110:113], v65, s[8:9] offset:320
	global_load_dwordx4 v[92:95], v65, s[8:9] offset:304
	;; [unrolled: 1-line block ×3, first 2 shown]
	global_load_dwordx4 v[118:121], v[126:127], off offset:304
	global_load_dwordx4 v[122:125], v73, s[8:9] offset:336
	s_nop 0
	global_load_dwordx4 v[126:129], v[126:127], off offset:336
	s_nop 0
	global_load_dwordx4 v[130:133], v73, s[8:9] offset:304
	s_waitcnt lgkmcnt(8)
	v_mov_b32_e32 v136, v37
	v_mov_b32_e32 v37, 0x8c0
	v_cmp_lt_u32_e64 s[4:5], 39, v50
	v_mov_b32_e32 v134, v43
	v_mov_b32_e32 v43, 3
	v_cndmask_b32_e64 v37, 0, v37, s[4:5]
	v_lshlrev_b32_e32 v55, 3, v55
	v_mov_b32_e32 v135, v42
	v_mov_b32_e32 v137, v36
	v_add3_u32 v55, 0, v37, v55
	v_mul_u32_u24_e32 v37, 0x8c0, v67
	v_lshlrev_b32_sdwa v67, v43, v71 dst_sel:DWORD dst_unused:UNUSED_PAD src0_sel:DWORD src1_sel:BYTE_0
	v_lshlrev_b32_sdwa v43, v43, v75 dst_sel:DWORD dst_unused:UNUSED_PAD src0_sel:DWORD src1_sel:BYTE_0
	v_mul_u32_u24_e32 v65, 0x8c0, v69
	s_waitcnt lgkmcnt(5)
	v_mov_b32_e32 v80, v35
	v_mov_b32_e32 v138, v41
	v_add3_u32 v65, 0, v65, v43
	s_mov_b32 s12, 0x3f08b237
	s_mov_b32 s20, 0x3d64c772
	;; [unrolled: 1-line block ×10, first 2 shown]
	v_add3_u32 v67, 0, v37, v67
	s_waitcnt lgkmcnt(0)
	; wave barrier
	s_waitcnt lgkmcnt(0)
	s_mov_b32 s16, 0xbf5ff5aa
	s_mov_b32 s18, 0x3f3bfb3b
	s_waitcnt vmcnt(8)
	v_pk_mul_f32 v[140:141], v[88:89], v[42:43] op_sel_hi:[1,0]
	v_mov_b32_e32 v42, v89
	v_pk_mul_f32 v[142:143], v[88:89], v[134:135]
	v_pk_mul_f32 v[144:145], v[90:91], v[36:37] op_sel_hi:[1,0]
	v_mov_b32_e32 v36, v91
	v_pk_mul_f32 v[146:147], v[90:91], v[136:137]
	v_pk_mul_f32 v[148:149], v[42:43], v[134:135]
	v_mov_b32_e32 v42, v143
	v_pk_mul_f32 v[142:143], v[36:37], v[136:137]
	v_mov_b32_e32 v36, v147
	s_waitcnt vmcnt(5)
	v_pk_mul_f32 v[154:155], v[34:35], v[92:93] op_sel_hi:[0,1]
	v_pk_fma_f32 v[134:135], v[88:89], v[134:135], v[42:43] neg_lo:[0,0,1] neg_hi:[0,0,1]
	v_pk_fma_f32 v[136:137], v[90:91], v[136:137], v[36:37] neg_lo:[0,0,1] neg_hi:[0,0,1]
	v_mov_b32_e32 v36, v107
	v_pk_mul_f32 v[42:43], v[44:45], v[106:107] op_sel:[1,0] op_sel_hi:[0,1]
	v_pk_mul_f32 v[88:89], v[38:39], v[108:109] op_sel:[1,0] op_sel_hi:[0,1]
	v_pk_mul_f32 v[152:153], v[40:41], v[94:95] op_sel_hi:[0,1]
	v_pk_mul_f32 v[156:157], v[46:47], v[110:111] op_sel:[1,0] op_sel_hi:[0,1]
	v_pk_mul_f32 v[160:161], v[24:25], v[112:113] op_sel:[1,0] op_sel_hi:[0,1]
	v_pk_fma_f32 v[34:35], v[34:35], v[92:93], v[154:155] op_sel:[1,0,1] op_sel_hi:[1,1,0]
	v_mov_b32_e32 v42, v109
	v_mov_b32_e32 v88, v111
	;; [unrolled: 1-line block ×3, first 2 shown]
	v_pk_fma_f32 v[40:41], v[40:41], v[94:95], v[152:153] op_sel:[1,0,1] op_sel_hi:[1,1,0]
	v_pk_fma_f32 v[138:139], v[138:139], v[94:95], v[152:153] op_sel:[0,0,1] op_sel_hi:[1,1,0] neg_lo:[0,0,1] neg_hi:[0,0,1]
	v_pk_fma_f32 v[152:153], v[80:81], v[92:93], v[154:155] op_sel:[0,0,1] op_sel_hi:[1,1,0] neg_lo:[0,0,1] neg_hi:[0,0,1]
	v_mov_b32_e32 v34, v89
	v_pk_mul_f32 v[162:163], v[44:45], v[36:37] op_sel:[1,0] op_sel_hi:[0,1]
	v_mov_b32_e32 v36, v43
	v_mov_b32_e32 v80, v161
	v_pk_mul_f32 v[146:147], v[44:45], v[106:107]
	v_pk_mul_f32 v[158:159], v[24:25], v[112:113]
	v_pk_mul_f32 v[154:155], v[38:39], v[42:43] op_sel:[1,0] op_sel_hi:[0,1]
	v_pk_mul_f32 v[42:43], v[46:47], v[88:89] op_sel:[1,0] op_sel_hi:[0,1]
	v_mov_b32_e32 v40, v157
	v_pk_mul_f32 v[88:89], v[24:25], v[156:157] op_sel:[1,0] op_sel_hi:[0,1]
	v_pk_fma_f32 v[92:93], v[38:39], v[108:109], v[34:35] op_sel:[1,0,0] op_sel_hi:[0,1,1] neg_lo:[0,0,1] neg_hi:[0,0,1]
	v_pk_fma_f32 v[94:95], v[44:45], v[106:107], v[36:37] op_sel:[1,0,0] op_sel_hi:[0,1,1] neg_lo:[0,0,1] neg_hi:[0,0,1]
	;; [unrolled: 1-line block ×3, first 2 shown]
	v_mov_b32_e32 v153, v35
	v_mov_b32_e32 v24, v31
	s_waitcnt vmcnt(4)
	v_pk_mul_f32 v[34:35], v[30:31], v[114:115] op_sel_hi:[0,1]
	v_pk_mul_f32 v[90:91], v[46:47], v[110:111]
	v_pk_fma_f32 v[46:47], v[46:47], v[110:111], v[40:41] op_sel:[1,0,0] op_sel_hi:[0,1,1] neg_lo:[0,0,1] neg_hi:[0,0,1]
	v_mov_b32_e32 v139, v41
	v_pk_fma_f32 v[40:41], v[24:25], v[114:115], v[34:35] op_sel:[0,0,1] op_sel_hi:[1,1,0] neg_lo:[0,0,1] neg_hi:[0,0,1]
	v_pk_fma_f32 v[24:25], v[30:31], v[114:115], v[34:35] op_sel:[1,0,1] op_sel_hi:[1,1,0]
	v_pk_mul_f32 v[30:31], v[86:87], v[116:117] op_sel_hi:[0,1]
	v_mov_b32_e32 v24, v87
	v_pk_mul_f32 v[150:151], v[38:39], v[108:109]
	v_mov_b32_e32 v41, v25
	v_pk_fma_f32 v[38:39], v[24:25], v[116:117], v[30:31] op_sel:[0,0,1] op_sel_hi:[1,1,0] neg_lo:[0,0,1] neg_hi:[0,0,1]
	v_pk_fma_f32 v[24:25], v[86:87], v[116:117], v[30:31] op_sel:[1,0,1] op_sel_hi:[1,1,0]
	s_waitcnt vmcnt(0)
	v_pk_mul_f32 v[106:107], v[130:131], v[32:33] op_sel_hi:[1,0]
	v_mov_b32_e32 v39, v25
	v_pk_add_f32 v[24:25], v[152:153], v[38:39]
	v_pk_add_f32 v[34:35], v[138:139], v[40:41]
	v_mov_b32_e32 v24, v33
	v_pk_fma_f32 v[108:109], v[130:131], v[24:25], v[106:107] op_sel:[0,0,1] op_sel_hi:[1,1,0] neg_lo:[0,0,1] neg_hi:[0,0,1]
	v_pk_fma_f32 v[32:33], v[130:131], v[32:33], v[106:107] op_sel:[0,1,1] op_sel_hi:[1,1,0]
	v_mov_b32_e32 v24, v23
	v_mov_b32_e32 v109, v33
	v_pk_mul_f32 v[32:33], v[132:133], v[22:23] op_sel_hi:[1,0]
	v_mov_b32_e32 v131, v134
	v_pk_fma_f32 v[22:23], v[132:133], v[22:23], v[32:33] op_sel:[0,1,1] op_sel_hi:[1,1,0]
	v_pk_fma_f32 v[106:107], v[132:133], v[24:25], v[32:33] op_sel:[0,0,1] op_sel_hi:[1,1,0] neg_lo:[0,0,1] neg_hi:[0,0,1]
	v_mov_b32_e32 v22, v29
	v_pk_mul_f32 v[32:33], v[28:29], v[122:123] op_sel_hi:[0,1]
	v_mov_b32_e32 v107, v23
	v_pk_fma_f32 v[22:23], v[22:23], v[122:123], v[32:33] op_sel:[0,0,1] op_sel_hi:[1,1,0] neg_lo:[0,0,1] neg_hi:[0,0,1]
	v_pk_fma_f32 v[28:29], v[28:29], v[122:123], v[32:33] op_sel:[1,0,1] op_sel_hi:[1,1,0]
	v_mov_b32_e32 v24, v19
	v_mov_b32_e32 v23, v29
	v_pk_mul_f32 v[28:29], v[18:19], v[124:125] op_sel_hi:[0,1]
	v_pk_fma_f32 v[32:33], v[24:25], v[124:125], v[28:29] op_sel:[0,0,1] op_sel_hi:[1,1,0] neg_lo:[0,0,1] neg_hi:[0,0,1]
	v_pk_fma_f32 v[18:19], v[18:19], v[124:125], v[28:29] op_sel:[1,0,1] op_sel_hi:[1,1,0]
	v_pk_mul_f32 v[122:123], v[118:119], v[14:15] op_sel_hi:[1,0]
	v_mov_b32_e32 v33, v19
	v_pk_add_f32 v[18:19], v[108:109], v[32:33]
	v_mov_b32_e32 v133, v136
	v_mov_b32_e32 v18, v15
	v_pk_fma_f32 v[14:15], v[118:119], v[14:15], v[122:123] op_sel:[0,1,1] op_sel_hi:[1,1,0]
	v_pk_fma_f32 v[124:125], v[118:119], v[18:19], v[122:123] op_sel:[0,0,1] op_sel_hi:[1,1,0] neg_lo:[0,0,1] neg_hi:[0,0,1]
	v_mov_b32_e32 v14, v21
	v_pk_mul_f32 v[118:119], v[120:121], v[20:21] op_sel_hi:[1,0]
	v_mov_b32_e32 v125, v15
	v_pk_fma_f32 v[14:15], v[120:121], v[14:15], v[118:119] op_sel:[0,0,1] op_sel_hi:[1,1,0] neg_lo:[0,0,1] neg_hi:[0,0,1]
	v_pk_fma_f32 v[20:21], v[120:121], v[20:21], v[118:119] op_sel:[0,1,1] op_sel_hi:[1,1,0]
	v_mov_b32_e32 v18, v27
	v_mov_b32_e32 v15, v21
	v_pk_mul_f32 v[20:21], v[126:127], v[26:27] op_sel_hi:[1,0]
	v_mov_b32_e32 v145, v124
	v_pk_fma_f32 v[118:119], v[126:127], v[18:19], v[20:21] op_sel:[0,0,1] op_sel_hi:[1,1,0] neg_lo:[0,0,1] neg_hi:[0,0,1]
	v_pk_fma_f32 v[20:21], v[126:127], v[26:27], v[20:21] op_sel:[0,1,1] op_sel_hi:[1,1,0]
	v_mov_b32_e32 v18, v17
	;; [unrolled: 6-line block ×3, first 2 shown]
	v_mov_b32_e32 v27, v17
	v_mov_b32_e32 v149, v118
	v_pk_add_f32 v[16:17], v[124:125], v[26:27]
	v_pk_add_f32 v[20:21], v[124:125], v[26:27] neg_lo:[0,1] neg_hi:[0,1]
	v_pk_add_f32 v[120:121], v[14:15], v[118:119]
	v_pk_add_f32 v[122:123], v[14:15], v[118:119] neg_lo:[0,1] neg_hi:[0,1]
	v_pk_add_f32 v[26:27], v[144:145], v[142:143]
	v_pk_add_f32 v[14:15], v[140:141], v[148:149]
	v_mov_b32_e32 v137, v26
	v_mov_b32_e32 v135, v14
	;; [unrolled: 1-line block ×4, first 2 shown]
	v_pk_add_f32 v[118:119], v[136:137], v[134:135] neg_lo:[0,1] neg_hi:[0,1]
	v_pk_add_f32 v[130:131], v[130:131], v[132:133]
	v_pk_add_f32 v[132:133], v[14:15], v[26:27]
	v_mov_b32_e32 v124, v118
	v_mov_b32_e32 v125, v21
	;; [unrolled: 1-line block ×7, first 2 shown]
	v_pk_add_f32 v[124:125], v[124:125], v[126:127] neg_lo:[0,1] neg_hi:[0,1]
	v_mov_b32_e32 v126, v20
	v_mov_b32_e32 v128, v118
	;; [unrolled: 1-line block ×3, first 2 shown]
	v_pk_add_f32 v[134:135], v[26:27], v[134:135] neg_lo:[0,1] neg_hi:[0,1]
	v_mov_b32_e32 v136, v17
	v_mov_b32_e32 v137, v131
	;; [unrolled: 1-line block ×3, first 2 shown]
	v_pk_add_f32 v[130:131], v[130:131], v[132:133]
	v_pk_mul_f32 v[124:125], v[124:125], s[12:13]
	v_pk_add_f32 v[126:127], v[126:127], v[128:129] neg_lo:[0,1] neg_hi:[0,1]
	v_pk_add_f32 v[118:119], v[118:119], v[122:123]
	v_pk_add_f32 v[136:137], v[136:137], v[14:15] neg_lo:[0,1] neg_hi:[0,1]
	v_pk_add_f32 v[12:13], v[12:13], v[130:131]
	v_pk_mul_f32 v[132:133], v[134:135], s[20:21]
	v_pk_mul_f32 v[128:129], v[126:127], s[14:15]
	v_pk_add_f32 v[118:119], v[118:119], v[20:21]
	v_pk_mul_f32 v[134:135], v[136:137], s[22:23]
	v_pk_fma_f32 v[130:131], v[130:131], s[24:25], v[12:13] op_sel_hi:[1,0,1] neg_lo:[1,0,0] neg_hi:[1,0,0]
	v_pk_fma_f32 v[136:137], v[136:137], s[22:23], v[132:133]
	v_pk_fma_f32 v[126:127], v[126:127], s[14:15], v[124:125]
	v_pk_add_f32 v[136:137], v[136:137], v[130:131]
	v_pk_fma_f32 v[126:127], v[118:119], s[4:5], v[126:127] op_sel_hi:[1,0,1]
	v_pk_add_f32 v[36:37], v[138:139], v[40:41] neg_lo:[0,1] neg_hi:[0,1]
	v_mov_b32_e32 v91, v138
	v_pk_add_f32 v[138:139], v[136:137], v[126:127]
	v_pk_add_f32 v[126:127], v[136:137], v[126:127] neg_lo:[0,1] neg_hi:[0,1]
	v_mov_b32_e32 v136, v138
	v_mov_b32_e32 v137, v127
	;; [unrolled: 1-line block ×4, first 2 shown]
	ds_write2_b64 v55, v[12:13], v[136:137] offset1:40
	v_pk_add_f32 v[12:13], v[122:123], v[20:21] neg_lo:[0,1] neg_hi:[0,1]
	v_pk_add_f32 v[14:15], v[14:15], v[26:27] neg_lo:[0,1] neg_hi:[0,1]
	v_mov_b32_e32 v16, v134
	v_mov_b32_e32 v17, v133
	;; [unrolled: 1-line block ×6, first 2 shown]
	v_pk_fma_f32 v[16:17], v[14:15], s[18:19], v[16:17] op_sel_hi:[1,0,1] neg_lo:[1,0,1] neg_hi:[1,0,1]
	v_pk_fma_f32 v[20:21], v[12:13], s[16:17], v[20:21] op_sel_hi:[1,0,1] neg_lo:[1,0,1] neg_hi:[1,0,1]
	;; [unrolled: 1-line block ×4, first 2 shown]
	v_pk_add_f32 v[16:17], v[16:17], v[130:131]
	v_pk_fma_f32 v[20:21], v[118:119], s[4:5], v[20:21] op_sel_hi:[1,0,1]
	v_pk_add_f32 v[14:15], v[14:15], v[130:131]
	v_pk_fma_f32 v[12:13], v[118:119], s[4:5], v[12:13] op_sel_hi:[1,0,1]
	v_mov_b32_e32 v151, v108
	v_mov_b32_e32 v155, v32
	;; [unrolled: 1-line block ×4, first 2 shown]
	v_pk_add_f32 v[26:27], v[16:17], v[20:21]
	v_pk_add_f32 v[16:17], v[16:17], v[20:21] neg_lo:[0,1] neg_hi:[0,1]
	v_pk_add_f32 v[118:119], v[14:15], v[12:13] neg_lo:[0,1] neg_hi:[0,1]
	v_pk_add_f32 v[12:13], v[14:15], v[12:13]
	v_pk_add_f32 v[28:29], v[108:109], v[32:33] neg_lo:[0,1] neg_hi:[0,1]
	v_pk_add_f32 v[110:111], v[106:107], v[22:23]
	;; [unrolled: 2-line block ×3, first 2 shown]
	v_pk_add_f32 v[22:23], v[146:147], v[162:163]
	v_mov_b32_e32 v20, v26
	v_mov_b32_e32 v21, v17
	;; [unrolled: 1-line block ×8, first 2 shown]
	ds_write2_b64 v55, v[20:21], v[14:15] offset0:80 offset1:120
	ds_write2_b64 v55, v[12:13], v[16:17] offset0:160 offset1:200
	v_mov_b32_e32 v12, v111
	v_mov_b32_e32 v13, v94
	v_mov_b32_e32 v14, v19
	v_mov_b32_e32 v15, v92
	v_pk_add_f32 v[106:107], v[92:93], v[94:95] neg_lo:[0,1] neg_hi:[0,1]
	v_pk_add_f32 v[12:13], v[12:13], v[14:15]
	v_pk_add_f32 v[14:15], v[22:23], v[32:33]
	v_mov_b32_e32 v108, v106
	v_mov_b32_e32 v109, v29
	v_mov_b32_e32 v114, v112
	v_mov_b32_e32 v115, v107
	v_mov_b32_e32 v32, v14
	v_mov_b32_e32 v16, v111
	v_mov_b32_e32 v17, v13
	v_pk_add_f32 v[108:109], v[108:109], v[114:115] neg_lo:[0,1] neg_hi:[0,1]
	v_mov_b32_e32 v114, v28
	v_mov_b32_e32 v116, v106
	;; [unrolled: 1-line block ×3, first 2 shown]
	v_pk_add_f32 v[16:17], v[32:33], v[16:17] neg_lo:[0,1] neg_hi:[0,1]
	v_mov_b32_e32 v20, v19
	v_mov_b32_e32 v21, v13
	;; [unrolled: 1-line block ×3, first 2 shown]
	v_pk_add_f32 v[12:13], v[12:13], v[14:15]
	v_pk_mul_f32 v[108:109], v[108:109], s[12:13]
	v_pk_add_f32 v[114:115], v[114:115], v[116:117] neg_lo:[0,1] neg_hi:[0,1]
	v_pk_add_f32 v[106:107], v[106:107], v[112:113]
	v_pk_add_f32 v[20:21], v[20:21], v[22:23] neg_lo:[0,1] neg_hi:[0,1]
	v_pk_add_f32 v[14:15], v[84:85], v[12:13]
	v_pk_mul_f32 v[16:17], v[16:17], s[20:21]
	v_pk_add_f32 v[106:107], v[106:107], v[28:29]
	v_pk_mul_f32 v[26:27], v[20:21], s[22:23]
	v_pk_fma_f32 v[12:13], v[12:13], s[24:25], v[14:15] op_sel_hi:[1,0,1] neg_lo:[1,0,0] neg_hi:[1,0,0]
	v_pk_fma_f32 v[20:21], v[20:21], s[22:23], v[16:17]
	v_pk_fma_f32 v[84:85], v[114:115], s[14:15], v[108:109]
	v_pk_add_f32 v[20:21], v[20:21], v[12:13]
	v_pk_fma_f32 v[84:85], v[106:107], s[4:5], v[84:85] op_sel_hi:[1,0,1]
	v_pk_mul_f32 v[116:117], v[114:115], s[14:15]
	v_pk_add_f32 v[92:93], v[20:21], v[84:85]
	v_pk_add_f32 v[20:21], v[20:21], v[84:85] neg_lo:[0,1] neg_hi:[0,1]
	v_mov_b32_e32 v127, v139
	v_mov_b32_e32 v84, v92
	;; [unrolled: 1-line block ×5, first 2 shown]
	ds_write_b64 v55, v[126:127] offset:1920
	ds_write2_b64 v67, v[14:15], v[84:85] offset1:40
	v_pk_add_f32 v[14:15], v[112:113], v[28:29] neg_lo:[0,1] neg_hi:[0,1]
	v_pk_add_f32 v[18:19], v[22:23], v[32:33] neg_lo:[0,1] neg_hi:[0,1]
	v_mov_b32_e32 v22, v26
	v_mov_b32_e32 v23, v17
	v_mov_b32_e32 v28, v116
	v_mov_b32_e32 v29, v109
	v_mov_b32_e32 v17, v27
	v_mov_b32_e32 v109, v117
	v_pk_fma_f32 v[22:23], v[18:19], s[18:19], v[22:23] op_sel_hi:[1,0,1] neg_lo:[1,0,1] neg_hi:[1,0,1]
	v_pk_fma_f32 v[28:29], v[14:15], s[16:17], v[28:29] op_sel_hi:[1,0,1] neg_lo:[1,0,1] neg_hi:[1,0,1]
	;; [unrolled: 1-line block ×4, first 2 shown]
	v_pk_add_f32 v[22:23], v[22:23], v[12:13]
	v_pk_fma_f32 v[28:29], v[106:107], s[4:5], v[28:29] op_sel_hi:[1,0,1]
	v_pk_add_f32 v[12:13], v[16:17], v[12:13]
	v_pk_fma_f32 v[14:15], v[106:107], s[4:5], v[14:15] op_sel_hi:[1,0,1]
	v_mov_b32_e32 v159, v152
	v_mov_b32_e32 v89, v38
	;; [unrolled: 1-line block ×3, first 2 shown]
	v_pk_add_f32 v[32:33], v[22:23], v[28:29]
	v_pk_add_f32 v[22:23], v[22:23], v[28:29] neg_lo:[0,1] neg_hi:[0,1]
	v_pk_add_f32 v[16:17], v[12:13], v[14:15] neg_lo:[0,1] neg_hi:[0,1]
	v_pk_add_f32 v[12:13], v[12:13], v[14:15]
	v_pk_add_f32 v[30:31], v[152:153], v[38:39] neg_lo:[0,1] neg_hi:[0,1]
	v_pk_add_f32 v[38:39], v[158:159], v[88:89]
	v_pk_add_f32 v[42:43], v[90:91], v[42:43]
	v_mov_b32_e32 v28, v32
	v_mov_b32_e32 v29, v23
	;; [unrolled: 1-line block ×8, first 2 shown]
	ds_write2_b64 v67, v[28:29], v[14:15] offset0:80 offset1:120
	ds_write2_b64 v67, v[12:13], v[22:23] offset0:160 offset1:200
	v_mov_b32_e32 v12, v35
	v_mov_b32_e32 v13, v46
	;; [unrolled: 1-line block ×4, first 2 shown]
	v_pk_add_f32 v[86:87], v[44:45], v[46:47] neg_lo:[0,1] neg_hi:[0,1]
	v_pk_add_f32 v[12:13], v[12:13], v[14:15]
	v_pk_add_f32 v[14:15], v[42:43], v[38:39]
	v_mov_b32_e32 v40, v86
	v_mov_b32_e32 v41, v31
	;; [unrolled: 1-line block ×7, first 2 shown]
	v_pk_add_f32 v[40:41], v[40:41], v[88:89] neg_lo:[0,1] neg_hi:[0,1]
	v_mov_b32_e32 v88, v30
	v_mov_b32_e32 v90, v86
	;; [unrolled: 1-line block ×3, first 2 shown]
	v_pk_add_f32 v[16:17], v[38:39], v[16:17] neg_lo:[0,1] neg_hi:[0,1]
	v_mov_b32_e32 v18, v25
	v_mov_b32_e32 v19, v13
	v_mov_b32_e32 v42, v14
	v_pk_add_f32 v[12:13], v[12:13], v[14:15]
	v_pk_mul_f32 v[40:41], v[40:41], s[12:13]
	v_pk_add_f32 v[90:91], v[88:89], v[90:91] neg_lo:[0,1] neg_hi:[0,1]
	v_pk_add_f32 v[86:87], v[86:87], v[36:37]
	v_mov_b32_e32 v21, v93
	v_pk_add_f32 v[18:19], v[18:19], v[42:43] neg_lo:[0,1] neg_hi:[0,1]
	v_pk_add_f32 v[14:15], v[82:83], v[12:13]
	v_pk_mul_f32 v[16:17], v[16:17], s[20:21]
	v_pk_add_f32 v[86:87], v[86:87], v[30:31]
	ds_write_b64 v67, v[20:21] offset:1920
	v_pk_mul_f32 v[20:21], v[18:19], s[22:23]
	v_pk_fma_f32 v[12:13], v[12:13], s[24:25], v[14:15] op_sel_hi:[1,0,1] neg_lo:[1,0,0] neg_hi:[1,0,0]
	v_pk_fma_f32 v[18:19], v[18:19], s[22:23], v[16:17]
	v_pk_fma_f32 v[22:23], v[90:91], s[14:15], v[40:41]
	v_pk_add_f32 v[18:19], v[18:19], v[12:13]
	v_pk_fma_f32 v[22:23], v[86:87], s[4:5], v[22:23] op_sel_hi:[1,0,1]
	v_pk_mul_f32 v[88:89], v[90:91], s[14:15]
	v_pk_add_f32 v[26:27], v[18:19], v[22:23]
	v_pk_add_f32 v[18:19], v[18:19], v[22:23] neg_lo:[0,1] neg_hi:[0,1]
	v_mov_b32_e32 v22, v26
	v_mov_b32_e32 v23, v19
	;; [unrolled: 1-line block ×4, first 2 shown]
	ds_write2_b64 v65, v[14:15], v[22:23] offset1:40
	v_pk_add_f32 v[14:15], v[36:37], v[30:31] neg_lo:[0,1] neg_hi:[0,1]
	v_pk_add_f32 v[22:23], v[42:43], v[38:39] neg_lo:[0,1] neg_hi:[0,1]
	v_mov_b32_e32 v24, v20
	v_mov_b32_e32 v25, v17
	;; [unrolled: 1-line block ×6, first 2 shown]
	v_pk_fma_f32 v[24:25], v[22:23], s[18:19], v[24:25] op_sel_hi:[1,0,1] neg_lo:[1,0,1] neg_hi:[1,0,1]
	v_pk_fma_f32 v[28:29], v[14:15], s[16:17], v[28:29] op_sel_hi:[1,0,1] neg_lo:[1,0,1] neg_hi:[1,0,1]
	;; [unrolled: 1-line block ×4, first 2 shown]
	v_pk_add_f32 v[24:25], v[24:25], v[12:13]
	v_pk_fma_f32 v[28:29], v[86:87], s[4:5], v[28:29] op_sel_hi:[1,0,1]
	v_pk_add_f32 v[12:13], v[16:17], v[12:13]
	v_pk_fma_f32 v[14:15], v[86:87], s[4:5], v[14:15] op_sel_hi:[1,0,1]
	v_pk_add_f32 v[30:31], v[24:25], v[28:29]
	v_pk_add_f32 v[24:25], v[24:25], v[28:29] neg_lo:[0,1] neg_hi:[0,1]
	v_pk_add_f32 v[16:17], v[12:13], v[14:15] neg_lo:[0,1] neg_hi:[0,1]
	v_pk_add_f32 v[12:13], v[12:13], v[14:15]
	v_mov_b32_e32 v28, v30
	v_mov_b32_e32 v29, v25
	;; [unrolled: 1-line block ×7, first 2 shown]
	ds_write2_b64 v65, v[28:29], v[14:15] offset0:80 offset1:120
	ds_write2_b64 v65, v[12:13], v[24:25] offset0:160 offset1:200
	ds_write_b64 v65, v[18:19] offset:1920
	s_and_saveexec_b64 s[24:25], s[2:3]
	s_cbranch_execz .LBB0_27
; %bb.26:
	v_mul_lo_u16_sdwa v12, v74, s17 dst_sel:DWORD dst_unused:UNUSED_PAD src0_sel:BYTE_0 src1_sel:DWORD
	v_lshrrev_b16_e32 v12, 13, v12
	v_mul_lo_u16_e32 v12, 40, v12
	v_sub_u16_e32 v12, v74, v12
	v_and_b32_e32 v25, 0xff, v12
	v_mul_u32_u24_e32 v12, 6, v25
	v_lshlrev_b32_e32 v24, 3, v12
	global_load_dwordx4 v[12:15], v24, s[8:9] offset:320
	global_load_dwordx4 v[16:19], v24, s[8:9] offset:304
	global_load_dwordx4 v[20:23], v24, s[8:9] offset:336
	v_mov_b32_e32 v24, v11
	v_mov_b32_e32 v26, v3
	;; [unrolled: 1-line block ×4, first 2 shown]
	v_lshl_add_u32 v46, v25, 3, 0
	s_mov_b32 s2, 0xbf955555
	v_add_u32_e32 v47, 0x2000, v46
	s_waitcnt vmcnt(2)
	v_mov_b32_e32 v32, v15
	v_mov_b32_e32 v33, v14
	s_waitcnt vmcnt(1)
	v_pk_mul_f32 v[34:35], v[4:5], v[16:17] op_sel_hi:[0,1]
	s_waitcnt vmcnt(0)
	v_pk_mul_f32 v[10:11], v[10:11], v[22:23] op_sel_hi:[0,1]
	v_pk_mul_f32 v[38:39], v[6:7], v[18:19] op_sel_hi:[0,1]
	;; [unrolled: 1-line block ×3, first 2 shown]
	v_pk_mul_f32 v[14:15], v[2:3], v[14:15]
	v_pk_mul_f32 v[36:37], v[0:1], v[12:13]
	v_pk_mul_f32 v[28:29], v[28:29], v[12:13] op_sel:[0,1] op_sel_hi:[1,0]
	v_pk_mul_f32 v[40:41], v[0:1], v[12:13] op_sel:[0,1] op_sel_hi:[1,0]
	v_pk_mul_f32 v[26:27], v[26:27], v[32:33]
	v_pk_mul_f32 v[42:43], v[2:3], v[32:33]
	v_pk_fma_f32 v[44:45], v[24:25], v[22:23], v[10:11] op_sel:[0,0,1] op_sel_hi:[0,1,0] neg_lo:[0,0,1] neg_hi:[0,0,1]
	v_pk_fma_f32 v[10:11], v[24:25], v[22:23], v[10:11] op_sel:[0,0,1] op_sel_hi:[0,1,0]
	v_pk_fma_f32 v[22:23], v[4:5], v[16:17], v[34:35] op_sel:[1,0,1] op_sel_hi:[1,1,0] neg_lo:[0,0,1] neg_hi:[0,0,1]
	v_pk_fma_f32 v[4:5], v[4:5], v[16:17], v[34:35] op_sel:[1,0,1] op_sel_hi:[1,1,0]
	;; [unrolled: 2-line block ×4, first 2 shown]
	v_mov_b32_e32 v40, v41
	v_mov_b32_e32 v4, v43
	;; [unrolled: 1-line block ×10, first 2 shown]
	v_pk_fma_f32 v[0:1], v[0:1], v[12:13], v[40:41] op_sel:[0,1,0] op_sel_hi:[1,0,1] neg_lo:[1,0,0] neg_hi:[1,0,0]
	v_pk_fma_f32 v[2:3], v[2:3], v[32:33], v[4:5] neg_lo:[1,0,0] neg_hi:[1,0,0]
	v_pk_add_f32 v[4:5], v[22:23], v[44:45]
	v_pk_add_f32 v[6:7], v[20:21], v[16:17]
	;; [unrolled: 1-line block ×4, first 2 shown]
	v_pk_add_f32 v[10:11], v[20:21], v[16:17] neg_lo:[0,1] neg_hi:[0,1]
	v_mov_b32_e32 v17, v0
	v_mov_b32_e32 v3, v12
	;; [unrolled: 1-line block ×6, first 2 shown]
	v_pk_add_f32 v[8:9], v[22:23], v[44:45] neg_lo:[0,1] neg_hi:[0,1]
	v_pk_add_f32 v[26:27], v[14:15], v[12:13]
	v_pk_add_f32 v[0:1], v[2:3], v[0:1] neg_lo:[0,1] neg_hi:[0,1]
	v_pk_add_f32 v[2:3], v[16:17], v[24:25]
	v_mov_b32_e32 v18, v8
	v_mov_b32_e32 v21, v11
	v_pk_add_f32 v[28:29], v[10:11], v[8:9] neg_lo:[0,1] neg_hi:[0,1]
	v_mov_b32_e32 v19, v1
	v_mov_b32_e32 v20, v0
	v_pk_add_f32 v[16:17], v[0:1], v[10:11]
	v_mov_b32_e32 v22, v0
	v_mov_b32_e32 v0, v10
	v_pk_add_f32 v[10:11], v[2:3], v[26:27]
	v_mov_b32_e32 v2, v5
	v_mov_b32_e32 v27, v15
	;; [unrolled: 1-line block ×3, first 2 shown]
	v_pk_add_f32 v[18:19], v[18:19], v[20:21] neg_lo:[0,1] neg_hi:[0,1]
	v_pk_add_f32 v[20:21], v[2:3], v[26:27] neg_lo:[0,1] neg_hi:[0,1]
	v_mov_b32_e32 v27, v13
	v_mov_b32_e32 v2, v7
	v_pk_add_f32 v[0:1], v[22:23], v[0:1] neg_lo:[0,1] neg_hi:[0,1]
	v_pk_add_f32 v[2:3], v[26:27], v[2:3] neg_lo:[0,1] neg_hi:[0,1]
	v_pk_mul_f32 v[22:23], v[18:19], s[14:15]
	v_pk_mul_f32 v[0:1], v[0:1], s[12:13]
	;; [unrolled: 1-line block ×4, first 2 shown]
	v_mov_b32_e32 v14, v7
	v_mov_b32_e32 v12, v5
	v_pk_add_f32 v[8:9], v[16:17], v[8:9]
	v_pk_add_f32 v[16:17], v[78:79], v[10:11]
	v_pk_fma_f32 v[18:19], v[18:19], s[14:15], v[0:1]
	v_mov_b32_e32 v26, v22
	v_mov_b32_e32 v27, v1
	v_pk_fma_f32 v[20:21], v[20:21], s[22:23], v[2:3]
	v_pk_add_f32 v[4:5], v[14:15], v[12:13] neg_lo:[0,1] neg_hi:[0,1]
	v_mov_b32_e32 v6, v24
	v_mov_b32_e32 v7, v3
	;; [unrolled: 1-line block ×4, first 2 shown]
	v_pk_fma_f32 v[10:11], v[10:11], s[2:3], v[16:17] op_sel_hi:[1,0,1]
	v_pk_fma_f32 v[26:27], v[28:29], s[16:17], v[26:27] op_sel_hi:[1,0,1] neg_lo:[1,0,1] neg_hi:[1,0,1]
	v_pk_fma_f32 v[6:7], v[4:5], s[18:19], v[6:7] op_sel_hi:[1,0,1] neg_lo:[1,0,1] neg_hi:[1,0,1]
	;; [unrolled: 1-line block ×4, first 2 shown]
	v_pk_fma_f32 v[26:27], v[8:9], s[4:5], v[26:27] op_sel_hi:[1,0,1]
	v_pk_add_f32 v[6:7], v[6:7], v[10:11]
	v_pk_fma_f32 v[0:1], v[8:9], s[4:5], v[0:1] op_sel_hi:[1,0,1]
	v_pk_add_f32 v[2:3], v[2:3], v[10:11]
	;; [unrolled: 2-line block ×3, first 2 shown]
	v_pk_add_f32 v[12:13], v[6:7], v[26:27]
	v_pk_add_f32 v[6:7], v[6:7], v[26:27] neg_lo:[0,1] neg_hi:[0,1]
	v_pk_add_f32 v[4:5], v[2:3], v[0:1] neg_lo:[0,1] neg_hi:[0,1]
	v_pk_add_f32 v[0:1], v[2:3], v[0:1]
	v_pk_add_f32 v[30:31], v[20:21], v[18:19]
	v_pk_add_f32 v[18:19], v[20:21], v[18:19] neg_lo:[0,1] neg_hi:[0,1]
	v_mov_b32_e32 v14, v12
	v_mov_b32_e32 v15, v7
	;; [unrolled: 1-line block ×6, first 2 shown]
	ds_write2_b64 v47, v[14:15], v[2:3] offset0:176 offset1:216
	v_mov_b32_e32 v1, v5
	v_mov_b32_e32 v7, v13
	v_add_u32_e32 v2, 0x2800, v46
	v_mov_b32_e32 v19, v31
	ds_write2_b64 v47, v[16:17], v[20:21] offset0:96 offset1:136
	ds_write2_b64 v2, v[0:1], v[6:7] offset1:40
	ds_write_b64 v46, v[18:19] offset:10880
.LBB0_27:
	s_or_b64 exec, exec, s[24:25]
	v_lshlrev_b32_e32 v80, 2, v50
	v_lshl_add_u64 v[2:3], v[80:81], 3, s[8:9]
	v_lshlrev_b32_e32 v80, 2, v54
	v_lshl_add_u64 v[8:9], v[80:81], 3, s[8:9]
	;; [unrolled: 2-line block ×4, first 2 shown]
	s_waitcnt lgkmcnt(0)
	; wave barrier
	s_waitcnt lgkmcnt(0)
	global_load_dwordx4 v[18:21], v[0:1], off offset:2224
	global_load_dwordx4 v[4:7], v[10:11], off offset:2224
	;; [unrolled: 1-line block ×3, first 2 shown]
	v_lshlrev_b32_e32 v80, 2, v72
	v_lshl_add_u64 v[10:11], v[80:81], 3, s[8:9]
	global_load_dwordx4 v[26:29], v[10:11], off offset:2224
	global_load_dwordx4 v[30:33], v[10:11], off offset:2240
	;; [unrolled: 1-line block ×3, first 2 shown]
	v_add_u32_e32 v10, 0x1800, v57
	ds_read_b64 v[46:47], v98
	ds_read_b64 v[94:95], v103
	;; [unrolled: 1-line block ×3, first 2 shown]
	ds_read2_b64 v[38:41], v10 offset0:72 offset1:128
	global_load_dwordx4 v[42:45], v[8:9], off offset:2240
	global_load_dwordx4 v[78:81], v[8:9], off offset:2224
	v_add_u32_e32 v11, 0x800, v57
	v_add_u32_e32 v16, 0x1400, v57
	;; [unrolled: 1-line block ×5, first 2 shown]
	ds_read2_b64 v[12:15], v11 offset0:192 offset1:248
	ds_read2_b64 v[82:85], v16 offset0:88 offset1:144
	;; [unrolled: 1-line block ×8, first 2 shown]
	global_load_dwordx4 v[122:125], v[2:3], off offset:2240
	global_load_dwordx4 v[126:129], v[2:3], off offset:2224
	s_mov_b32 s4, 0x3f737871
	s_mov_b32 s12, 0x3f167918
	;; [unrolled: 1-line block ×3, first 2 shown]
	s_waitcnt vmcnt(8) lgkmcnt(7)
	v_pk_mul_f32 v[16:17], v[12:13], v[4:5] op_sel:[0,1]
	s_waitcnt vmcnt(7) lgkmcnt(3)
	v_pk_mul_f32 v[132:133], v[108:109], v[22:23] op_sel:[0,1]
	v_mov_b32_e32 v134, v25
	v_pk_fma_f32 v[10:11], v[12:13], v[4:5], v[16:17] op_sel:[0,0,1] op_sel_hi:[1,1,0]
	v_pk_fma_f32 v[16:17], v[12:13], v[4:5], v[16:17] op_sel:[0,0,1] op_sel_hi:[1,0,0] neg_lo:[0,0,1] neg_hi:[0,0,1]
	v_pk_fma_f32 v[12:13], v[108:109], v[22:23], v[132:133] op_sel:[0,0,1] op_sel_hi:[1,1,0]
	v_pk_fma_f32 v[22:23], v[108:109], v[22:23], v[132:133] op_sel:[0,0,1] op_sel_hi:[1,0,0] neg_lo:[0,0,1] neg_hi:[0,0,1]
	v_pk_mul_f32 v[108:109], v[90:91], v[134:135] op_sel_hi:[1,0]
	v_mov_b32_e32 v11, v17
	v_mov_b32_e32 v13, v23
	v_pk_fma_f32 v[16:17], v[90:91], v[24:25], v[108:109] op_sel:[0,0,1] op_sel_hi:[1,1,0]
	v_pk_fma_f32 v[22:23], v[90:91], v[24:25], v[108:109] op_sel:[0,0,1] op_sel_hi:[1,0,0] neg_lo:[0,0,1] neg_hi:[0,0,1]
	ds_read_b64 v[24:25], v63
	s_waitcnt lgkmcnt(3)
	v_pk_mul_f32 v[2:3], v[112:113], v[18:19] op_sel:[0,1]
	v_mov_b32_e32 v8, v21
	v_mov_b32_e32 v130, v7
	v_pk_fma_f32 v[136:137], v[112:113], v[18:19], v[2:3] op_sel:[0,0,1] op_sel_hi:[1,1,0]
	v_pk_fma_f32 v[2:3], v[112:113], v[18:19], v[2:3] op_sel:[0,0,1] op_sel_hi:[1,0,0] neg_lo:[0,0,1] neg_hi:[0,0,1]
	s_waitcnt lgkmcnt(2)
	v_pk_mul_f32 v[112:113], v[116:117], v[8:9] op_sel_hi:[1,0]
	s_waitcnt vmcnt(6)
	v_pk_mul_f32 v[8:9], v[14:15], v[26:27] op_sel:[0,1]
	v_mov_b32_e32 v18, v29
	s_waitcnt vmcnt(5)
	v_pk_mul_f32 v[138:139], v[86:87], v[30:31] op_sel:[0,1]
	v_mov_b32_e32 v140, v33
	v_pk_mul_f32 v[130:131], v[82:83], v[130:131] op_sel_hi:[1,0]
	v_mov_b32_e32 v137, v3
	v_pk_fma_f32 v[132:133], v[116:117], v[20:21], v[112:113] op_sel:[0,0,1] op_sel_hi:[1,1,0]
	v_pk_fma_f32 v[2:3], v[14:15], v[26:27], v[8:9] op_sel:[0,0,1] op_sel_hi:[1,1,0]
	v_pk_fma_f32 v[8:9], v[14:15], v[26:27], v[8:9] op_sel:[0,0,1] op_sel_hi:[1,0,0] neg_lo:[0,0,1] neg_hi:[0,0,1]
	v_pk_mul_f32 v[18:19], v[84:85], v[18:19] op_sel_hi:[1,0]
	v_pk_fma_f32 v[4:5], v[86:87], v[30:31], v[138:139] op_sel:[0,0,1] op_sel_hi:[1,1,0]
	v_pk_fma_f32 v[26:27], v[86:87], v[30:31], v[138:139] op_sel:[0,0,1] op_sel_hi:[1,0,0] neg_lo:[0,0,1] neg_hi:[0,0,1]
	v_pk_mul_f32 v[30:31], v[92:93], v[140:141] op_sel_hi:[1,0]
	v_pk_fma_f32 v[14:15], v[82:83], v[6:7], v[130:131] op_sel:[0,0,1] op_sel_hi:[1,1,0]
	v_pk_fma_f32 v[82:83], v[82:83], v[6:7], v[130:131] op_sel:[0,0,1] op_sel_hi:[1,0,0] neg_lo:[0,0,1] neg_hi:[0,0,1]
	v_pk_fma_f32 v[20:21], v[116:117], v[20:21], v[112:113] op_sel:[0,0,1] op_sel_hi:[1,0,0] neg_lo:[0,0,1] neg_hi:[0,0,1]
	v_mov_b32_e32 v3, v9
	v_pk_fma_f32 v[6:7], v[84:85], v[28:29], v[18:19] op_sel:[0,0,1] op_sel_hi:[1,1,0]
	v_pk_fma_f32 v[18:19], v[84:85], v[28:29], v[18:19] op_sel:[0,0,1] op_sel_hi:[1,0,0] neg_lo:[0,0,1] neg_hi:[0,0,1]
	v_mov_b32_e32 v5, v27
	v_pk_fma_f32 v[8:9], v[92:93], v[32:33], v[30:31] op_sel:[0,0,1] op_sel_hi:[1,1,0]
	v_pk_fma_f32 v[26:27], v[92:93], v[32:33], v[30:31] op_sel:[0,0,1] op_sel_hi:[1,0,0] neg_lo:[0,0,1] neg_hi:[0,0,1]
	v_mov_b32_e32 v15, v83
	s_waitcnt lgkmcnt(0)
	v_pk_add_f32 v[28:29], v[24:25], v[10:11]
	v_mov_b32_e32 v133, v21
	s_waitcnt vmcnt(4)
	v_pk_mul_f32 v[20:21], v[106:107], v[34:35] op_sel:[0,1]
	v_mov_b32_e32 v9, v27
	v_pk_add_f32 v[26:27], v[28:29], v[14:15]
	v_pk_fma_f32 v[28:29], v[106:107], v[34:35], v[20:21] op_sel:[0,0,1] op_sel_hi:[1,1,0]
	v_pk_fma_f32 v[20:21], v[106:107], v[34:35], v[20:21] op_sel:[0,0,1] op_sel_hi:[1,0,0] neg_lo:[0,0,1] neg_hi:[0,0,1]
	s_waitcnt vmcnt(2)
	v_pk_mul_f32 v[34:35], v[110:111], v[78:79] op_sel:[0,1]
	v_mov_b32_e32 v20, v37
	v_mov_b32_e32 v29, v21
	v_pk_mul_f32 v[20:21], v[120:121], v[20:21] op_sel_hi:[1,0]
	v_mov_b32_e32 v17, v23
	v_pk_fma_f32 v[30:31], v[120:121], v[36:37], v[20:21] op_sel:[0,0,1] op_sel_hi:[1,1,0]
	v_pk_fma_f32 v[20:21], v[120:121], v[36:37], v[20:21] op_sel:[0,0,1] op_sel_hi:[1,0,0] neg_lo:[0,0,1] neg_hi:[0,0,1]
	v_pk_fma_f32 v[36:37], v[110:111], v[78:79], v[34:35] op_sel:[0,0,1] op_sel_hi:[1,1,0]
	v_pk_fma_f32 v[34:35], v[110:111], v[78:79], v[34:35] op_sel:[0,0,1] op_sel_hi:[1,0,0] neg_lo:[0,0,1] neg_hi:[0,0,1]
	ds_read_b64 v[22:23], v59
	v_mov_b32_e32 v34, v81
	v_mov_b32_e32 v37, v35
	v_pk_mul_f32 v[34:35], v[114:115], v[34:35] op_sel_hi:[1,0]
	v_mov_b32_e32 v31, v21
	ds_read_b64 v[20:21], v61
	v_pk_fma_f32 v[78:79], v[114:115], v[80:81], v[34:35] op_sel:[0,0,1] op_sel_hi:[1,1,0]
	v_pk_fma_f32 v[34:35], v[114:115], v[80:81], v[34:35] op_sel:[0,0,1] op_sel_hi:[1,0,0] neg_lo:[0,0,1] neg_hi:[0,0,1]
	v_pk_add_f32 v[26:27], v[26:27], v[12:13]
	v_mov_b32_e32 v79, v35
	v_pk_mul_f32 v[34:35], v[40:41], v[42:43] op_sel:[0,1]
	v_pk_add_f32 v[26:27], v[26:27], v[16:17]
	v_pk_fma_f32 v[80:81], v[40:41], v[42:43], v[34:35] op_sel:[0,0,1] op_sel_hi:[1,1,0]
	v_pk_fma_f32 v[34:35], v[40:41], v[42:43], v[34:35] op_sel:[0,0,1] op_sel_hi:[1,0,0] neg_lo:[0,0,1] neg_hi:[0,0,1]
	s_waitcnt lgkmcnt(0)
	v_pk_add_f32 v[42:43], v[20:21], v[36:37]
	v_mov_b32_e32 v34, v45
	v_mov_b32_e32 v81, v35
	v_pk_mul_f32 v[34:35], v[118:119], v[34:35] op_sel_hi:[1,0]
	v_pk_add_f32 v[42:43], v[42:43], v[78:79]
	v_pk_fma_f32 v[40:41], v[118:119], v[44:45], v[34:35] op_sel:[0,0,1] op_sel_hi:[1,1,0]
	v_pk_fma_f32 v[34:35], v[118:119], v[44:45], v[34:35] op_sel:[0,0,1] op_sel_hi:[1,0,0] neg_lo:[0,0,1] neg_hi:[0,0,1]
	s_waitcnt vmcnt(0)
	v_pk_mul_f32 v[44:45], v[126:127], v[94:95] op_sel:[0,1]
	v_mov_b32_e32 v41, v35
	v_pk_fma_f32 v[82:83], v[126:127], v[94:95], v[44:45] op_sel:[0,0,1] op_sel_hi:[1,1,0]
	v_pk_fma_f32 v[44:45], v[126:127], v[94:95], v[44:45] op_sel:[0,0,1] op_sel_hi:[1,0,0] neg_lo:[1,0,0] neg_hi:[1,0,0]
	ds_read_b64 v[34:35], v57
	v_mov_b32_e32 v83, v45
	v_pk_mul_f32 v[44:45], v[128:129], v[46:47] op_sel:[0,1]
	s_waitcnt lgkmcnt(0)
	v_pk_fma_f32 v[84:85], v[128:129], v[46:47], v[44:45] op_sel:[0,0,1] op_sel_hi:[1,1,0]
	v_pk_fma_f32 v[44:45], v[128:129], v[46:47], v[44:45] op_sel:[0,0,1] op_sel_hi:[1,0,0] neg_lo:[1,0,0] neg_hi:[1,0,0]
	; wave barrier
	s_nop 0
	v_mov_b32_e32 v85, v45
	v_pk_mul_f32 v[44:45], v[122:123], v[38:39] op_sel:[0,1]
	v_pk_add_f32 v[94:95], v[82:83], v[84:85] neg_lo:[0,1] neg_hi:[0,1]
	v_pk_fma_f32 v[46:47], v[122:123], v[38:39], v[44:45] op_sel:[0,0,1] op_sel_hi:[1,1,0]
	v_pk_fma_f32 v[38:39], v[122:123], v[38:39], v[44:45] op_sel:[0,0,1] op_sel_hi:[1,0,0] neg_lo:[1,0,0] neg_hi:[1,0,0]
	v_pk_add_f32 v[42:43], v[42:43], v[80:81]
	v_mov_b32_e32 v38, v125
	v_mov_b32_e32 v47, v39
	v_pk_mul_f32 v[38:39], v[88:89], v[38:39] op_sel_hi:[1,0]
	v_pk_add_f32 v[90:91], v[84:85], v[46:47] neg_lo:[0,1] neg_hi:[0,1]
	v_pk_fma_f32 v[44:45], v[88:89], v[124:125], v[38:39] op_sel:[0,0,1] op_sel_hi:[1,1,0]
	v_pk_fma_f32 v[38:39], v[88:89], v[124:125], v[38:39] op_sel:[0,0,1] op_sel_hi:[1,0,0] neg_lo:[0,0,1] neg_hi:[0,0,1]
	v_pk_mul_f32 v[92:93], v[90:91], s[12:13] op_sel_hi:[1,0]
	v_mov_b32_e32 v45, v39
	v_pk_add_f32 v[38:39], v[34:35], v[82:83]
	v_pk_add_f32 v[86:87], v[82:83], v[44:45] neg_lo:[0,1] neg_hi:[0,1]
	v_pk_add_f32 v[38:39], v[38:39], v[84:85]
	v_pk_mul_f32 v[88:89], v[86:87], s[4:5] op_sel_hi:[1,0]
	v_pk_add_f32 v[38:39], v[38:39], v[46:47]
	v_pk_add_f32 v[106:107], v[44:45], v[46:47] neg_lo:[0,1] neg_hi:[0,1]
	v_pk_add_f32 v[38:39], v[38:39], v[44:45]
	ds_write_b64 v57, v[38:39]
	v_pk_add_f32 v[38:39], v[84:85], v[46:47]
	v_pk_add_f32 v[94:95], v[94:95], v[106:107]
	v_pk_fma_f32 v[38:39], v[38:39], 0.5, v[34:35] op_sel_hi:[1,0,1] neg_lo:[1,0,0] neg_hi:[1,0,0]
	v_pk_add_f32 v[42:43], v[42:43], v[40:41]
	v_pk_add_f32 v[106:107], v[38:39], v[88:89] op_sel:[0,1] op_sel_hi:[1,0] neg_lo:[0,1] neg_hi:[0,1]
	v_pk_add_f32 v[38:39], v[38:39], v[88:89] op_sel:[0,1] op_sel_hi:[1,0]
	v_pk_add_f32 v[88:89], v[106:107], v[92:93] op_sel:[0,1] op_sel_hi:[1,0] neg_lo:[0,1] neg_hi:[0,1]
	v_pk_add_f32 v[38:39], v[38:39], v[92:93] op_sel:[0,1] op_sel_hi:[1,0]
	v_mov_b32_e32 v92, v88
	v_mov_b32_e32 v93, v39
	v_pk_fma_f32 v[92:93], v[94:95], s[2:3], v[92:93] op_sel_hi:[1,0,1]
	ds_write_b64 v57, v[92:93] offset:2240
	v_pk_add_f32 v[92:93], v[82:83], v[44:45]
	v_pk_add_f32 v[82:83], v[84:85], v[82:83] neg_lo:[0,1] neg_hi:[0,1]
	v_pk_fma_f32 v[34:35], v[92:93], 0.5, v[34:35] op_sel_hi:[1,0,1] neg_lo:[1,0,0] neg_hi:[1,0,0]
	v_pk_add_f32 v[44:45], v[46:47], v[44:45] neg_lo:[0,1] neg_hi:[0,1]
	v_pk_mul_f32 v[46:47], v[90:91], s[4:5] op_sel_hi:[1,0]
	v_pk_add_f32 v[44:45], v[82:83], v[44:45]
	v_pk_mul_f32 v[82:83], v[86:87], s[12:13] op_sel_hi:[1,0]
	v_pk_add_f32 v[84:85], v[34:35], v[46:47] op_sel:[0,1] op_sel_hi:[1,0]
	v_pk_add_f32 v[34:35], v[34:35], v[46:47] op_sel:[0,1] op_sel_hi:[1,0] neg_lo:[0,1] neg_hi:[0,1]
	v_pk_add_f32 v[46:47], v[84:85], v[82:83] op_sel:[0,1] op_sel_hi:[1,0] neg_lo:[0,1] neg_hi:[0,1]
	v_pk_add_f32 v[34:35], v[34:35], v[82:83] op_sel:[0,1] op_sel_hi:[1,0]
	v_mov_b32_e32 v82, v46
	v_mov_b32_e32 v83, v35
	;; [unrolled: 1-line block ×3, first 2 shown]
	v_pk_fma_f32 v[34:35], v[44:45], s[2:3], v[34:35] op_sel_hi:[1,0,1]
	v_mov_b32_e32 v39, v89
	v_pk_fma_f32 v[82:83], v[44:45], s[2:3], v[82:83] op_sel_hi:[1,0,1]
	ds_write_b64 v57, v[34:35] offset:6720
	v_pk_fma_f32 v[34:35], v[94:95], s[2:3], v[38:39] op_sel_hi:[1,0,1]
	ds_write_b64 v57, v[82:83] offset:4480
	ds_write_b64 v57, v[34:35] offset:8960
	ds_write_b64 v61, v[42:43]
	v_pk_add_f32 v[34:35], v[78:79], v[80:81]
	v_pk_add_f32 v[38:39], v[36:37], v[40:41] neg_lo:[0,1] neg_hi:[0,1]
	v_pk_fma_f32 v[34:35], v[34:35], 0.5, v[20:21] op_sel_hi:[1,0,1] neg_lo:[1,0,0] neg_hi:[1,0,0]
	v_pk_mul_f32 v[42:43], v[38:39], s[4:5] op_sel_hi:[1,0]
	v_pk_add_f32 v[44:45], v[78:79], v[80:81] neg_lo:[0,1] neg_hi:[0,1]
	v_pk_add_f32 v[82:83], v[36:37], v[78:79] neg_lo:[0,1] neg_hi:[0,1]
	;; [unrolled: 1-line block ×3, first 2 shown]
	v_pk_mul_f32 v[46:47], v[44:45], s[12:13] op_sel_hi:[1,0]
	v_pk_add_f32 v[82:83], v[82:83], v[84:85]
	v_pk_add_f32 v[84:85], v[34:35], v[42:43] op_sel:[0,1] op_sel_hi:[1,0] neg_lo:[0,1] neg_hi:[0,1]
	v_pk_add_f32 v[34:35], v[34:35], v[42:43] op_sel:[0,1] op_sel_hi:[1,0]
	v_pk_add_f32 v[42:43], v[84:85], v[46:47] op_sel:[0,1] op_sel_hi:[1,0] neg_lo:[0,1] neg_hi:[0,1]
	v_pk_add_f32 v[34:35], v[34:35], v[46:47] op_sel:[0,1] op_sel_hi:[1,0]
	v_mov_b32_e32 v46, v42
	v_mov_b32_e32 v47, v35
	v_pk_fma_f32 v[46:47], v[82:83], s[2:3], v[46:47] op_sel_hi:[1,0,1]
	ds_write_b64 v61, v[46:47] offset:2240
	v_pk_add_f32 v[46:47], v[36:37], v[40:41]
	v_pk_add_f32 v[36:37], v[78:79], v[36:37] neg_lo:[0,1] neg_hi:[0,1]
	v_pk_add_f32 v[40:41], v[80:81], v[40:41] neg_lo:[0,1] neg_hi:[0,1]
	v_pk_fma_f32 v[20:21], v[46:47], 0.5, v[20:21] op_sel_hi:[1,0,1] neg_lo:[1,0,0] neg_hi:[1,0,0]
	v_pk_add_f32 v[36:37], v[36:37], v[40:41]
	v_pk_mul_f32 v[40:41], v[44:45], s[4:5] op_sel_hi:[1,0]
	v_pk_mul_f32 v[38:39], v[38:39], s[12:13] op_sel_hi:[1,0]
	v_pk_add_f32 v[44:45], v[20:21], v[40:41] op_sel:[0,1] op_sel_hi:[1,0]
	v_pk_add_f32 v[20:21], v[20:21], v[40:41] op_sel:[0,1] op_sel_hi:[1,0] neg_lo:[0,1] neg_hi:[0,1]
	v_pk_add_f32 v[32:33], v[22:23], v[136:137]
	v_pk_add_f32 v[20:21], v[20:21], v[38:39] op_sel:[0,1] op_sel_hi:[1,0]
	v_pk_add_f32 v[38:39], v[44:45], v[38:39] op_sel:[0,1] op_sel_hi:[1,0] neg_lo:[0,1] neg_hi:[0,1]
	v_pk_add_f32 v[32:33], v[32:33], v[132:133]
	v_mov_b32_e32 v41, v21
	v_mov_b32_e32 v21, v39
	v_pk_add_f32 v[32:33], v[32:33], v[28:29]
	v_mov_b32_e32 v40, v38
	v_pk_fma_f32 v[20:21], v[36:37], s[2:3], v[20:21] op_sel_hi:[1,0,1]
	v_mov_b32_e32 v35, v43
	v_pk_add_f32 v[32:33], v[32:33], v[30:31]
	v_pk_fma_f32 v[40:41], v[36:37], s[2:3], v[40:41] op_sel_hi:[1,0,1]
	ds_write_b64 v61, v[20:21] offset:6720
	v_pk_fma_f32 v[20:21], v[82:83], s[2:3], v[34:35] op_sel_hi:[1,0,1]
	ds_write_b64 v61, v[40:41] offset:4480
	ds_write_b64 v61, v[20:21] offset:8960
	ds_write_b64 v59, v[32:33]
	v_pk_add_f32 v[20:21], v[132:133], v[28:29]
	v_pk_add_f32 v[32:33], v[136:137], v[30:31] neg_lo:[0,1] neg_hi:[0,1]
	v_pk_fma_f32 v[20:21], v[20:21], 0.5, v[22:23] op_sel_hi:[1,0,1] neg_lo:[1,0,0] neg_hi:[1,0,0]
	v_pk_mul_f32 v[34:35], v[32:33], s[4:5] op_sel_hi:[1,0]
	v_pk_add_f32 v[36:37], v[132:133], v[28:29] neg_lo:[0,1] neg_hi:[0,1]
	v_pk_add_f32 v[40:41], v[136:137], v[132:133] neg_lo:[0,1] neg_hi:[0,1]
	;; [unrolled: 1-line block ×3, first 2 shown]
	v_pk_mul_f32 v[38:39], v[36:37], s[12:13] op_sel_hi:[1,0]
	v_pk_add_f32 v[40:41], v[40:41], v[42:43]
	v_pk_add_f32 v[42:43], v[20:21], v[34:35] op_sel:[0,1] op_sel_hi:[1,0] neg_lo:[0,1] neg_hi:[0,1]
	v_pk_add_f32 v[20:21], v[20:21], v[34:35] op_sel:[0,1] op_sel_hi:[1,0]
	v_pk_add_f32 v[34:35], v[42:43], v[38:39] op_sel:[0,1] op_sel_hi:[1,0] neg_lo:[0,1] neg_hi:[0,1]
	v_pk_add_f32 v[20:21], v[20:21], v[38:39] op_sel:[0,1] op_sel_hi:[1,0]
	v_mov_b32_e32 v38, v34
	v_mov_b32_e32 v39, v21
	v_pk_fma_f32 v[38:39], v[40:41], s[2:3], v[38:39] op_sel_hi:[1,0,1]
	ds_write_b64 v59, v[38:39] offset:2240
	v_pk_add_f32 v[38:39], v[136:137], v[30:31]
	v_pk_add_f32 v[28:29], v[28:29], v[30:31] neg_lo:[0,1] neg_hi:[0,1]
	v_pk_fma_f32 v[22:23], v[38:39], 0.5, v[22:23] op_sel_hi:[1,0,1] neg_lo:[1,0,0] neg_hi:[1,0,0]
	v_pk_mul_f32 v[30:31], v[36:37], s[4:5] op_sel_hi:[1,0]
	v_pk_mul_f32 v[32:33], v[32:33], s[12:13] op_sel_hi:[1,0]
	v_pk_add_f32 v[36:37], v[22:23], v[30:31] op_sel:[0,1] op_sel_hi:[1,0]
	v_pk_add_f32 v[22:23], v[22:23], v[30:31] op_sel:[0,1] op_sel_hi:[1,0] neg_lo:[0,1] neg_hi:[0,1]
	v_pk_add_f32 v[38:39], v[132:133], v[136:137] neg_lo:[0,1] neg_hi:[0,1]
	v_pk_add_f32 v[22:23], v[22:23], v[32:33] op_sel:[0,1] op_sel_hi:[1,0]
	v_pk_add_f32 v[30:31], v[36:37], v[32:33] op_sel:[0,1] op_sel_hi:[1,0] neg_lo:[0,1] neg_hi:[0,1]
	v_pk_add_f32 v[28:29], v[38:39], v[28:29]
	v_mov_b32_e32 v32, v30
	v_mov_b32_e32 v33, v23
	;; [unrolled: 1-line block ×4, first 2 shown]
	v_pk_fma_f32 v[32:33], v[28:29], s[2:3], v[32:33] op_sel_hi:[1,0,1]
	v_pk_fma_f32 v[22:23], v[28:29], s[2:3], v[22:23] op_sel_hi:[1,0,1]
	;; [unrolled: 1-line block ×3, first 2 shown]
	ds_write_b64 v59, v[32:33] offset:4480
	ds_write_b64 v59, v[22:23] offset:6720
	;; [unrolled: 1-line block ×3, first 2 shown]
	ds_write_b64 v63, v[26:27]
	v_pk_add_f32 v[20:21], v[14:15], v[12:13]
	v_pk_add_f32 v[22:23], v[10:11], v[16:17] neg_lo:[0,1] neg_hi:[0,1]
	v_pk_fma_f32 v[20:21], v[20:21], 0.5, v[24:25] op_sel_hi:[1,0,1] neg_lo:[1,0,0] neg_hi:[1,0,0]
	v_pk_mul_f32 v[26:27], v[22:23], s[4:5] op_sel_hi:[1,0]
	v_pk_add_f32 v[28:29], v[14:15], v[12:13] neg_lo:[0,1] neg_hi:[0,1]
	v_pk_add_f32 v[32:33], v[10:11], v[14:15] neg_lo:[0,1] neg_hi:[0,1]
	;; [unrolled: 1-line block ×3, first 2 shown]
	v_pk_mul_f32 v[30:31], v[28:29], s[12:13] op_sel_hi:[1,0]
	v_pk_add_f32 v[32:33], v[32:33], v[34:35]
	v_pk_add_f32 v[34:35], v[20:21], v[26:27] op_sel:[0,1] op_sel_hi:[1,0] neg_lo:[0,1] neg_hi:[0,1]
	v_pk_add_f32 v[20:21], v[20:21], v[26:27] op_sel:[0,1] op_sel_hi:[1,0]
	v_pk_add_f32 v[26:27], v[34:35], v[30:31] op_sel:[0,1] op_sel_hi:[1,0] neg_lo:[0,1] neg_hi:[0,1]
	v_pk_add_f32 v[20:21], v[20:21], v[30:31] op_sel:[0,1] op_sel_hi:[1,0]
	v_mov_b32_e32 v30, v26
	v_mov_b32_e32 v31, v21
	v_pk_fma_f32 v[30:31], v[32:33], s[2:3], v[30:31] op_sel_hi:[1,0,1]
	ds_write_b64 v63, v[30:31] offset:2240
	v_pk_add_f32 v[30:31], v[10:11], v[16:17]
	v_pk_add_f32 v[10:11], v[14:15], v[10:11] neg_lo:[0,1] neg_hi:[0,1]
	v_pk_add_f32 v[12:13], v[12:13], v[16:17] neg_lo:[0,1] neg_hi:[0,1]
	v_pk_fma_f32 v[24:25], v[30:31], 0.5, v[24:25] op_sel_hi:[1,0,1] neg_lo:[1,0,0] neg_hi:[1,0,0]
	v_pk_add_f32 v[10:11], v[10:11], v[12:13]
	v_pk_mul_f32 v[12:13], v[28:29], s[4:5] op_sel_hi:[1,0]
	v_pk_mul_f32 v[14:15], v[22:23], s[12:13] op_sel_hi:[1,0]
	v_pk_add_f32 v[16:17], v[24:25], v[12:13] op_sel:[0,1] op_sel_hi:[1,0]
	v_pk_add_f32 v[12:13], v[24:25], v[12:13] op_sel:[0,1] op_sel_hi:[1,0] neg_lo:[0,1] neg_hi:[0,1]
	v_mov_b32_e32 v7, v19
	v_pk_add_f32 v[12:13], v[12:13], v[14:15] op_sel:[0,1] op_sel_hi:[1,0]
	v_pk_add_f32 v[14:15], v[16:17], v[14:15] op_sel:[0,1] op_sel_hi:[1,0] neg_lo:[0,1] neg_hi:[0,1]
	v_pk_add_f32 v[18:19], v[0:1], v[2:3]
	v_mov_b32_e32 v16, v14
	v_mov_b32_e32 v17, v13
	;; [unrolled: 1-line block ×3, first 2 shown]
	v_pk_add_f32 v[18:19], v[18:19], v[6:7]
	v_pk_fma_f32 v[16:17], v[10:11], s[2:3], v[16:17] op_sel_hi:[1,0,1]
	v_pk_fma_f32 v[10:11], v[10:11], s[2:3], v[12:13] op_sel_hi:[1,0,1]
	v_mov_b32_e32 v21, v27
	v_pk_add_f32 v[18:19], v[18:19], v[4:5]
	ds_write_b64 v63, v[10:11] offset:6720
	v_pk_fma_f32 v[10:11], v[32:33], s[2:3], v[20:21] op_sel_hi:[1,0,1]
	v_pk_add_f32 v[18:19], v[18:19], v[8:9]
	ds_write_b64 v63, v[16:17] offset:4480
	ds_write_b64 v63, v[10:11] offset:8960
	ds_write_b64 v104, v[18:19]
	v_pk_add_f32 v[10:11], v[6:7], v[4:5]
	v_pk_add_f32 v[12:13], v[2:3], v[8:9] neg_lo:[0,1] neg_hi:[0,1]
	v_pk_fma_f32 v[10:11], v[10:11], 0.5, v[0:1] op_sel_hi:[1,0,1] neg_lo:[1,0,0] neg_hi:[1,0,0]
	v_pk_mul_f32 v[14:15], v[12:13], s[4:5] op_sel_hi:[1,0]
	v_pk_add_f32 v[16:17], v[6:7], v[4:5] neg_lo:[0,1] neg_hi:[0,1]
	v_pk_add_f32 v[20:21], v[2:3], v[6:7] neg_lo:[0,1] neg_hi:[0,1]
	;; [unrolled: 1-line block ×3, first 2 shown]
	v_pk_mul_f32 v[18:19], v[16:17], s[12:13] op_sel_hi:[1,0]
	v_pk_add_f32 v[20:21], v[20:21], v[22:23]
	v_pk_add_f32 v[22:23], v[10:11], v[14:15] op_sel:[0,1] op_sel_hi:[1,0] neg_lo:[0,1] neg_hi:[0,1]
	v_pk_add_f32 v[10:11], v[10:11], v[14:15] op_sel:[0,1] op_sel_hi:[1,0]
	v_pk_add_f32 v[14:15], v[22:23], v[18:19] op_sel:[0,1] op_sel_hi:[1,0] neg_lo:[0,1] neg_hi:[0,1]
	v_pk_add_f32 v[10:11], v[10:11], v[18:19] op_sel:[0,1] op_sel_hi:[1,0]
	v_mov_b32_e32 v18, v14
	v_mov_b32_e32 v19, v11
	v_pk_fma_f32 v[18:19], v[20:21], s[2:3], v[18:19] op_sel_hi:[1,0,1]
	ds_write_b64 v104, v[18:19] offset:2240
	v_pk_add_f32 v[18:19], v[2:3], v[8:9]
	v_pk_add_f32 v[2:3], v[6:7], v[2:3] neg_lo:[0,1] neg_hi:[0,1]
	v_pk_add_f32 v[4:5], v[4:5], v[8:9] neg_lo:[0,1] neg_hi:[0,1]
	v_pk_fma_f32 v[0:1], v[18:19], 0.5, v[0:1] op_sel_hi:[1,0,1] neg_lo:[1,0,0] neg_hi:[1,0,0]
	v_pk_add_f32 v[2:3], v[2:3], v[4:5]
	v_pk_mul_f32 v[4:5], v[16:17], s[4:5] op_sel_hi:[1,0]
	v_pk_mul_f32 v[6:7], v[12:13], s[12:13] op_sel_hi:[1,0]
	v_pk_add_f32 v[8:9], v[0:1], v[4:5] op_sel:[0,1] op_sel_hi:[1,0]
	v_pk_add_f32 v[0:1], v[0:1], v[4:5] op_sel:[0,1] op_sel_hi:[1,0] neg_lo:[0,1] neg_hi:[0,1]
	v_pk_add_f32 v[4:5], v[8:9], v[6:7] op_sel:[0,1] op_sel_hi:[1,0] neg_lo:[0,1] neg_hi:[0,1]
	v_pk_add_f32 v[0:1], v[0:1], v[6:7] op_sel:[0,1] op_sel_hi:[1,0]
	v_mov_b32_e32 v6, v4
	v_mov_b32_e32 v7, v1
	;; [unrolled: 1-line block ×3, first 2 shown]
	v_pk_fma_f32 v[0:1], v[2:3], s[2:3], v[0:1] op_sel_hi:[1,0,1]
	v_mov_b32_e32 v11, v15
	v_pk_fma_f32 v[6:7], v[2:3], s[2:3], v[6:7] op_sel_hi:[1,0,1]
	ds_write_b64 v104, v[0:1] offset:6720
	v_pk_fma_f32 v[0:1], v[20:21], s[2:3], v[10:11] op_sel_hi:[1,0,1]
	ds_write_b64 v104, v[6:7] offset:4480
	ds_write_b64 v104, v[0:1] offset:8960
	s_waitcnt lgkmcnt(0)
	; wave barrier
	s_waitcnt lgkmcnt(0)
	ds_read_b64 v[4:5], v57
	s_add_u32 s4, s8, 0x2bb0
	s_addc_u32 s5, s9, 0
	v_sub_u32_e32 v6, 0, v51
	v_cmp_ne_u32_e64 s[2:3], 0, v50
                                        ; implicit-def: $vgpr2_vgpr3
                                        ; implicit-def: $vgpr1
	s_and_saveexec_b64 s[8:9], s[2:3]
	s_xor_b64 s[2:3], exec, s[8:9]
	s_cbranch_execz .LBB0_29
; %bb.28:
	v_mov_b32_e32 v51, 0
	v_lshl_add_u64 v[0:1], v[50:51], 3, s[4:5]
	global_load_dwordx2 v[2:3], v[0:1], off
	ds_read_b64 v[0:1], v6 offset:11200
	v_mov_b32_e32 v9, 0.5
	v_mov_b32_e32 v10, v9
	s_waitcnt lgkmcnt(0)
	v_pk_add_f32 v[12:13], v[0:1], v[4:5]
	v_pk_add_f32 v[0:1], v[4:5], v[0:1] neg_lo:[0,1] neg_hi:[0,1]
	v_mov_b32_e32 v4, v13
	v_mov_b32_e32 v5, v0
	v_pk_mul_f32 v[4:5], v[4:5], 0.5 op_sel_hi:[1,0]
	s_waitcnt vmcnt(0)
	v_mov_b32_e32 v8, v3
	v_mov_b32_e32 v0, v5
	;; [unrolled: 1-line block ×4, first 2 shown]
	v_pk_mul_f32 v[0:1], v[8:9], v[0:1]
	v_pk_mul_f32 v[14:15], v[2:3], v[4:5] op_sel_hi:[0,1]
	v_pk_fma_f32 v[8:9], v[12:13], v[10:11], v[0:1]
	v_pk_fma_f32 v[10:11], v[12:13], v[10:11], v[0:1] neg_lo:[0,0,1] neg_hi:[0,0,1]
	v_add_f32_e32 v0, v14, v8
	v_sub_f32_e32 v1, v9, v15
	ds_write_b32 v57, v0
	v_pk_fma_f32 v[2:3], v[2:3], v[4:5], v[10:11] op_sel_hi:[0,1,1] neg_lo:[1,0,0] neg_hi:[1,0,0]
                                        ; implicit-def: $vgpr4_vgpr5
.LBB0_29:
	s_andn2_saveexec_b64 s[2:3], s[2:3]
	s_cbranch_execz .LBB0_31
; %bb.30:
	s_waitcnt lgkmcnt(0)
	v_mov_b32_e32 v0, v5
	v_pk_add_f32 v[0:1], v[4:5], v[0:1] neg_lo:[0,1] neg_hi:[0,1]
	v_add_f32_e32 v3, v5, v4
	v_mov_b32_e32 v1, 0
	ds_read_b32 v2, v1 offset:5604
	ds_write_b32 v57, v3
	s_waitcnt lgkmcnt(1)
	v_xor_b32_e32 v2, 0x80000000, v2
	ds_write_b32 v1, v2 offset:5604
	v_mov_b64_e32 v[2:3], v[0:1]
.LBB0_31:
	s_or_b64 exec, exec, s[2:3]
	v_mov_b32_e32 v55, 0
	s_waitcnt lgkmcnt(0)
	v_lshl_add_u64 v[4:5], v[54:55], 3, s[4:5]
	global_load_dwordx2 v[4:5], v[4:5], off
	v_mov_b32_e32 v77, v55
	v_lshl_add_u64 v[8:9], v[76:77], 3, s[4:5]
	global_load_dwordx2 v[8:9], v[8:9], off
	v_mov_b32_e32 v75, v55
	;; [unrolled: 3-line block ×3, first 2 shown]
	ds_write_b32 v57, v1 offset:4
	ds_write_b64 v6, v[2:3] offset:11200
	v_lshl_add_u64 v[2:3], v[72:73], 3, s[4:5]
	global_load_dwordx2 v[2:3], v[2:3], off
	v_mov_b32_e32 v71, v55
	v_lshl_add_u64 v[28:29], v[70:71], 3, s[4:5]
	ds_read_b64 v[12:13], v61
	ds_read_b64 v[14:15], v6 offset:10752
	global_load_dwordx2 v[28:29], v[28:29], off
	v_mov_b32_e32 v1, 0.5
	v_mov_b32_e32 v16, v1
	v_mov_b32_e32 v69, v55
	s_waitcnt lgkmcnt(0)
	v_pk_add_f32 v[30:31], v[12:13], v[14:15]
	v_pk_add_f32 v[12:13], v[12:13], v[14:15] neg_lo:[0,1] neg_hi:[0,1]
	v_mov_b32_e32 v14, v31
	v_mov_b32_e32 v15, v12
	v_pk_mul_f32 v[14:15], v[14:15], 0.5 op_sel_hi:[1,0]
	v_mov_b32_e32 v18, v1
	v_mov_b32_e32 v12, v15
	;; [unrolled: 1-line block ×9, first 2 shown]
	s_waitcnt vmcnt(4)
	v_mov_b32_e32 v0, v5
	v_mov_b32_e32 v17, v5
	v_pk_mul_f32 v[12:13], v[0:1], v[12:13]
	s_waitcnt vmcnt(3)
	v_mov_b32_e32 v0, v9
	v_pk_fma_f32 v[32:33], v[30:31], v[16:17], v[12:13]
	v_pk_fma_f32 v[12:13], v[30:31], v[16:17], v[12:13] neg_lo:[0,0,1] neg_hi:[0,0,1]
	v_pk_fma_f32 v[16:17], v[4:5], v[14:15], v[32:33]
	v_pk_fma_f32 v[30:31], v[4:5], v[14:15], v[32:33] op_sel_hi:[0,1,1] neg_lo:[1,0,0] neg_hi:[1,0,0]
	v_mov_b32_e32 v17, v31
	v_pk_fma_f32 v[4:5], v[4:5], v[14:15], v[12:13] op_sel_hi:[0,1,1] neg_lo:[1,0,0] neg_hi:[1,0,0]
	ds_write_b64 v61, v[16:17]
	ds_write_b64 v6, v[4:5] offset:10752
	v_lshl_add_u64 v[14:15], v[68:69], 3, s[4:5]
	ds_read_b64 v[4:5], v59
	ds_read_b64 v[12:13], v6 offset:10304
	global_load_dwordx2 v[14:15], v[14:15], off
	v_mov_b32_e32 v19, v9
	s_waitcnt vmcnt(3)
	v_mov_b32_e32 v21, v11
	s_waitcnt vmcnt(2)
	v_mov_b32_e32 v23, v3
	s_waitcnt lgkmcnt(0)
	v_pk_add_f32 v[16:17], v[4:5], v[12:13]
	v_pk_add_f32 v[4:5], v[4:5], v[12:13] neg_lo:[0,1] neg_hi:[0,1]
	v_mov_b32_e32 v12, v17
	v_mov_b32_e32 v13, v4
	v_pk_mul_f32 v[12:13], v[12:13], 0.5 op_sel_hi:[1,0]
	s_waitcnt vmcnt(1)
	v_mov_b32_e32 v25, v29
	v_mov_b32_e32 v4, v13
	;; [unrolled: 1-line block ×3, first 2 shown]
	v_pk_mul_f32 v[4:5], v[0:1], v[4:5]
	v_mov_b32_e32 v0, v11
	v_pk_fma_f32 v[30:31], v[16:17], v[18:19], v[4:5]
	v_pk_fma_f32 v[4:5], v[16:17], v[18:19], v[4:5] neg_lo:[0,0,1] neg_hi:[0,0,1]
	v_pk_fma_f32 v[16:17], v[8:9], v[12:13], v[30:31]
	v_pk_fma_f32 v[18:19], v[8:9], v[12:13], v[30:31] op_sel_hi:[0,1,1] neg_lo:[1,0,0] neg_hi:[1,0,0]
	v_mov_b32_e32 v17, v19
	v_pk_fma_f32 v[4:5], v[8:9], v[12:13], v[4:5] op_sel_hi:[0,1,1] neg_lo:[1,0,0] neg_hi:[1,0,0]
	ds_write_b64 v59, v[16:17]
	ds_write_b64 v6, v[4:5] offset:10304
	v_lshl_add_u64 v[12:13], v[66:67], 3, s[4:5]
	ds_read_b64 v[4:5], v63
	ds_read_b64 v[8:9], v6 offset:9856
	global_load_dwordx2 v[12:13], v[12:13], off
	v_mov_b32_e32 v61, v55
	v_mov_b32_e32 v59, v55
	s_waitcnt lgkmcnt(0)
	v_pk_add_f32 v[16:17], v[4:5], v[8:9]
	v_pk_add_f32 v[4:5], v[4:5], v[8:9] neg_lo:[0,1] neg_hi:[0,1]
	v_mov_b32_e32 v8, v17
	v_mov_b32_e32 v9, v4
	v_pk_mul_f32 v[8:9], v[8:9], 0.5 op_sel_hi:[1,0]
	s_waitcnt vmcnt(1)
	v_mov_b32_e32 v27, v15
	v_mov_b32_e32 v4, v9
	v_mov_b32_e32 v17, v8
	v_pk_mul_f32 v[4:5], v[0:1], v[4:5]
	v_mov_b32_e32 v0, v3
	v_pk_fma_f32 v[18:19], v[16:17], v[20:21], v[4:5]
	v_pk_fma_f32 v[4:5], v[16:17], v[20:21], v[4:5] neg_lo:[0,0,1] neg_hi:[0,0,1]
	v_pk_fma_f32 v[16:17], v[10:11], v[8:9], v[18:19]
	v_pk_fma_f32 v[18:19], v[10:11], v[8:9], v[18:19] op_sel_hi:[0,1,1] neg_lo:[1,0,0] neg_hi:[1,0,0]
	v_mov_b32_e32 v17, v19
	v_pk_fma_f32 v[4:5], v[10:11], v[8:9], v[4:5] op_sel_hi:[0,1,1] neg_lo:[1,0,0] neg_hi:[1,0,0]
	ds_write_b64 v63, v[16:17]
	ds_write_b64 v6, v[4:5] offset:9856
	ds_read_b64 v[4:5], v104
	ds_read_b64 v[8:9], v6 offset:9408
	v_mov_b32_e32 v63, v55
	s_waitcnt lgkmcnt(0)
	v_pk_add_f32 v[10:11], v[4:5], v[8:9]
	v_pk_add_f32 v[4:5], v[4:5], v[8:9] neg_lo:[0,1] neg_hi:[0,1]
	v_mov_b32_e32 v8, v11
	v_mov_b32_e32 v9, v4
	v_pk_mul_f32 v[8:9], v[8:9], 0.5 op_sel_hi:[1,0]
	s_nop 0
	v_mov_b32_e32 v4, v9
	v_mov_b32_e32 v11, v8
	v_pk_mul_f32 v[4:5], v[0:1], v[4:5]
	v_mov_b32_e32 v0, v29
	v_pk_fma_f32 v[16:17], v[10:11], v[22:23], v[4:5]
	v_pk_fma_f32 v[4:5], v[10:11], v[22:23], v[4:5] neg_lo:[0,0,1] neg_hi:[0,0,1]
	v_pk_fma_f32 v[10:11], v[2:3], v[8:9], v[16:17]
	v_pk_fma_f32 v[16:17], v[2:3], v[8:9], v[16:17] op_sel_hi:[0,1,1] neg_lo:[1,0,0] neg_hi:[1,0,0]
	v_mov_b32_e32 v11, v17
	v_pk_fma_f32 v[2:3], v[2:3], v[8:9], v[4:5] op_sel_hi:[0,1,1] neg_lo:[1,0,0] neg_hi:[1,0,0]
	ds_write_b64 v104, v[10:11]
	ds_write_b64 v6, v[2:3] offset:9408
	v_lshl_add_u64 v[8:9], v[64:65], 3, s[4:5]
	ds_read_b64 v[2:3], v103
	ds_read_b64 v[4:5], v6 offset:8960
	global_load_dwordx2 v[8:9], v[8:9], off
	s_waitcnt lgkmcnt(0)
	v_pk_add_f32 v[10:11], v[2:3], v[4:5]
	v_pk_add_f32 v[2:3], v[2:3], v[4:5] neg_lo:[0,1] neg_hi:[0,1]
	v_mov_b32_e32 v4, v11
	v_mov_b32_e32 v5, v2
	v_pk_mul_f32 v[4:5], v[4:5], 0.5 op_sel_hi:[1,0]
	s_nop 0
	v_mov_b32_e32 v2, v5
	v_mov_b32_e32 v11, v4
	v_pk_mul_f32 v[2:3], v[0:1], v[2:3]
	v_mov_b32_e32 v0, v15
	v_pk_fma_f32 v[16:17], v[10:11], v[24:25], v[2:3]
	v_pk_fma_f32 v[2:3], v[10:11], v[24:25], v[2:3] neg_lo:[0,0,1] neg_hi:[0,0,1]
	v_pk_fma_f32 v[10:11], v[28:29], v[4:5], v[16:17]
	v_pk_fma_f32 v[16:17], v[28:29], v[4:5], v[16:17] op_sel_hi:[0,1,1] neg_lo:[1,0,0] neg_hi:[1,0,0]
	v_mov_b32_e32 v11, v17
	v_pk_fma_f32 v[2:3], v[28:29], v[4:5], v[2:3] op_sel_hi:[0,1,1] neg_lo:[1,0,0] neg_hi:[1,0,0]
	ds_write_b64 v103, v[10:11]
	ds_write_b64 v6, v[2:3] offset:8960
	v_lshl_add_u64 v[10:11], v[62:63], 3, s[4:5]
	ds_read_b64 v[2:3], v102
	ds_read_b64 v[4:5], v6 offset:8512
	global_load_dwordx2 v[10:11], v[10:11], off
	s_waitcnt lgkmcnt(0)
	v_pk_add_f32 v[16:17], v[2:3], v[4:5]
	v_pk_add_f32 v[2:3], v[2:3], v[4:5] neg_lo:[0,1] neg_hi:[0,1]
	v_mov_b32_e32 v4, v17
	v_mov_b32_e32 v5, v2
	v_pk_mul_f32 v[4:5], v[4:5], 0.5 op_sel_hi:[1,0]
	s_nop 0
	v_mov_b32_e32 v2, v5
	v_mov_b32_e32 v17, v4
	v_pk_mul_f32 v[2:3], v[0:1], v[2:3]
	s_waitcnt vmcnt(2)
	v_mov_b32_e32 v0, v13
	v_pk_fma_f32 v[18:19], v[16:17], v[26:27], v[2:3]
	v_pk_fma_f32 v[2:3], v[16:17], v[26:27], v[2:3] neg_lo:[0,0,1] neg_hi:[0,0,1]
	v_pk_fma_f32 v[16:17], v[14:15], v[4:5], v[18:19]
	v_pk_fma_f32 v[18:19], v[14:15], v[4:5], v[18:19] op_sel_hi:[0,1,1] neg_lo:[1,0,0] neg_hi:[1,0,0]
	v_mov_b32_e32 v17, v19
	v_pk_fma_f32 v[2:3], v[14:15], v[4:5], v[2:3] op_sel_hi:[0,1,1] neg_lo:[1,0,0] neg_hi:[1,0,0]
	ds_write_b64 v102, v[16:17]
	ds_write_b64 v6, v[2:3] offset:8512
	v_lshl_add_u64 v[14:15], v[60:61], 3, s[4:5]
	ds_read_b64 v[2:3], v101
	ds_read_b64 v[4:5], v6 offset:8064
	global_load_dwordx2 v[14:15], v[14:15], off
	v_mov_b32_e32 v18, v1
	v_mov_b32_e32 v19, v13
	s_waitcnt lgkmcnt(0)
	v_pk_add_f32 v[16:17], v[2:3], v[4:5]
	v_pk_add_f32 v[2:3], v[2:3], v[4:5] neg_lo:[0,1] neg_hi:[0,1]
	v_mov_b32_e32 v4, v17
	v_mov_b32_e32 v5, v2
	v_pk_mul_f32 v[4:5], v[4:5], 0.5 op_sel_hi:[1,0]
	s_nop 0
	v_mov_b32_e32 v2, v5
	v_pk_mul_f32 v[2:3], v[0:1], v[2:3]
	v_mov_b32_e32 v17, v4
	v_pk_fma_f32 v[20:21], v[16:17], v[18:19], v[2:3]
	v_pk_fma_f32 v[2:3], v[16:17], v[18:19], v[2:3] neg_lo:[0,0,1] neg_hi:[0,0,1]
	v_pk_fma_f32 v[22:23], v[12:13], v[4:5], v[20:21]
	v_pk_fma_f32 v[20:21], v[12:13], v[4:5], v[20:21] op_sel_hi:[0,1,1] neg_lo:[1,0,0] neg_hi:[1,0,0]
	v_mov_b32_e32 v23, v21
	v_pk_fma_f32 v[2:3], v[12:13], v[4:5], v[2:3] op_sel_hi:[0,1,1] neg_lo:[1,0,0] neg_hi:[1,0,0]
	ds_write_b64 v101, v[22:23]
	ds_write_b64 v6, v[2:3] offset:8064
	v_lshl_add_u64 v[16:17], v[58:59], 3, s[4:5]
	ds_read_b64 v[2:3], v100
	ds_read_b64 v[4:5], v6 offset:7616
	global_load_dwordx2 v[16:17], v[16:17], off
	s_waitcnt lgkmcnt(0)
	v_pk_add_f32 v[12:13], v[2:3], v[4:5]
	v_pk_add_f32 v[2:3], v[2:3], v[4:5] neg_lo:[0,1] neg_hi:[0,1]
	v_mov_b32_e32 v4, v13
	v_mov_b32_e32 v5, v2
	v_pk_mul_f32 v[4:5], v[4:5], 0.5 op_sel_hi:[1,0]
	s_waitcnt vmcnt(3)
	v_mov_b32_e32 v0, v9
	v_mov_b32_e32 v2, v5
	v_pk_mul_f32 v[2:3], v[0:1], v[2:3]
	v_mov_b32_e32 v13, v4
	v_mov_b32_e32 v19, v9
	v_pk_fma_f32 v[20:21], v[12:13], v[18:19], v[2:3]
	v_pk_fma_f32 v[2:3], v[12:13], v[18:19], v[2:3] neg_lo:[0,0,1] neg_hi:[0,0,1]
	v_pk_fma_f32 v[22:23], v[8:9], v[4:5], v[20:21]
	v_pk_fma_f32 v[20:21], v[8:9], v[4:5], v[20:21] op_sel_hi:[0,1,1] neg_lo:[1,0,0] neg_hi:[1,0,0]
	v_mov_b32_e32 v23, v21
	v_pk_fma_f32 v[2:3], v[8:9], v[4:5], v[2:3] op_sel_hi:[0,1,1] neg_lo:[1,0,0] neg_hi:[1,0,0]
	ds_write_b64 v100, v[22:23]
	ds_write_b64 v6, v[2:3] offset:7616
	ds_read_b64 v[2:3], v99
	ds_read_b64 v[4:5], v6 offset:7168
	v_mov_b32_e32 v12, v1
	s_waitcnt lgkmcnt(0)
	v_pk_add_f32 v[8:9], v[2:3], v[4:5]
	v_pk_add_f32 v[2:3], v[2:3], v[4:5] neg_lo:[0,1] neg_hi:[0,1]
	v_mov_b32_e32 v4, v9
	v_mov_b32_e32 v5, v2
	v_pk_mul_f32 v[4:5], v[4:5], 0.5 op_sel_hi:[1,0]
	s_waitcnt vmcnt(2)
	v_mov_b32_e32 v0, v11
	v_mov_b32_e32 v2, v5
	v_pk_mul_f32 v[2:3], v[0:1], v[2:3]
	v_mov_b32_e32 v9, v4
	v_mov_b32_e32 v13, v11
	v_pk_fma_f32 v[18:19], v[8:9], v[12:13], v[2:3]
	v_pk_fma_f32 v[2:3], v[8:9], v[12:13], v[2:3] neg_lo:[0,0,1] neg_hi:[0,0,1]
	v_pk_fma_f32 v[20:21], v[10:11], v[4:5], v[18:19]
	v_pk_fma_f32 v[18:19], v[10:11], v[4:5], v[18:19] op_sel_hi:[0,1,1] neg_lo:[1,0,0] neg_hi:[1,0,0]
	v_mov_b32_e32 v21, v19
	v_pk_fma_f32 v[2:3], v[10:11], v[4:5], v[2:3] op_sel_hi:[0,1,1] neg_lo:[1,0,0] neg_hi:[1,0,0]
	ds_write_b64 v99, v[20:21]
	ds_write_b64 v6, v[2:3] offset:7168
	ds_read_b64 v[2:3], v98
	ds_read_b64 v[4:5], v6 offset:6720
	v_mov_b32_e32 v10, v1
	s_waitcnt lgkmcnt(0)
	v_pk_add_f32 v[8:9], v[2:3], v[4:5]
	v_pk_add_f32 v[2:3], v[2:3], v[4:5] neg_lo:[0,1] neg_hi:[0,1]
	v_mov_b32_e32 v4, v9
	v_mov_b32_e32 v5, v2
	v_pk_mul_f32 v[4:5], v[4:5], 0.5 op_sel_hi:[1,0]
	s_waitcnt vmcnt(1)
	v_mov_b32_e32 v0, v15
	v_mov_b32_e32 v2, v5
	v_pk_mul_f32 v[2:3], v[0:1], v[2:3]
	v_mov_b32_e32 v9, v4
	v_mov_b32_e32 v11, v15
	v_pk_fma_f32 v[12:13], v[8:9], v[10:11], v[2:3]
	v_pk_fma_f32 v[2:3], v[8:9], v[10:11], v[2:3] neg_lo:[0,0,1] neg_hi:[0,0,1]
	v_pk_fma_f32 v[18:19], v[14:15], v[4:5], v[12:13]
	v_pk_fma_f32 v[12:13], v[14:15], v[4:5], v[12:13] op_sel_hi:[0,1,1] neg_lo:[1,0,0] neg_hi:[1,0,0]
	v_mov_b32_e32 v19, v13
	v_pk_fma_f32 v[2:3], v[14:15], v[4:5], v[2:3] op_sel_hi:[0,1,1] neg_lo:[1,0,0] neg_hi:[1,0,0]
	ds_write_b64 v98, v[18:19]
	ds_write_b64 v6, v[2:3] offset:6720
	ds_read_b64 v[2:3], v97
	ds_read_b64 v[4:5], v6 offset:6272
	s_waitcnt lgkmcnt(0)
	v_pk_add_f32 v[8:9], v[2:3], v[4:5]
	v_pk_add_f32 v[2:3], v[2:3], v[4:5] neg_lo:[0,1] neg_hi:[0,1]
	v_mov_b32_e32 v4, v9
	v_mov_b32_e32 v5, v2
	v_pk_mul_f32 v[4:5], v[4:5], 0.5 op_sel_hi:[1,0]
	s_waitcnt vmcnt(0)
	v_mov_b32_e32 v0, v17
	v_mov_b32_e32 v2, v5
	v_pk_mul_f32 v[2:3], v[0:1], v[2:3]
	v_mov_b32_e32 v9, v4
	v_mov_b32_e32 v11, v17
	v_pk_fma_f32 v[12:13], v[8:9], v[10:11], v[2:3]
	v_pk_fma_f32 v[2:3], v[8:9], v[10:11], v[2:3] neg_lo:[0,0,1] neg_hi:[0,0,1]
	v_pk_fma_f32 v[14:15], v[16:17], v[4:5], v[12:13]
	v_pk_fma_f32 v[12:13], v[16:17], v[4:5], v[12:13] op_sel_hi:[0,1,1] neg_lo:[1,0,0] neg_hi:[1,0,0]
	v_mov_b32_e32 v15, v13
	v_pk_fma_f32 v[2:3], v[16:17], v[4:5], v[2:3] op_sel_hi:[0,1,1] neg_lo:[1,0,0] neg_hi:[1,0,0]
	ds_write_b64 v97, v[14:15]
	ds_write_b64 v6, v[2:3] offset:6272
	s_and_saveexec_b64 s[2:3], s[0:1]
	s_cbranch_execz .LBB0_33
; %bb.32:
	v_mov_b32_e32 v57, v55
	v_lshl_add_u64 v[2:3], v[56:57], 3, s[4:5]
	global_load_dwordx2 v[2:3], v[2:3], off
	ds_read_b64 v[4:5], v96
	ds_read_b64 v[8:9], v6 offset:5824
	v_mov_b32_e32 v10, v1
	s_waitcnt lgkmcnt(0)
	v_pk_add_f32 v[12:13], v[4:5], v[8:9]
	v_pk_add_f32 v[4:5], v[4:5], v[8:9] neg_lo:[0,1] neg_hi:[0,1]
	v_mov_b32_e32 v8, v13
	v_mov_b32_e32 v9, v4
	v_pk_mul_f32 v[8:9], v[8:9], 0.5 op_sel_hi:[1,0]
	s_waitcnt vmcnt(0)
	v_mov_b32_e32 v0, v3
	v_mov_b32_e32 v4, v9
	;; [unrolled: 1-line block ×4, first 2 shown]
	v_pk_mul_f32 v[0:1], v[0:1], v[4:5]
	s_nop 0
	v_pk_fma_f32 v[4:5], v[12:13], v[10:11], v[0:1]
	v_pk_fma_f32 v[0:1], v[12:13], v[10:11], v[0:1] neg_lo:[0,0,1] neg_hi:[0,0,1]
	v_pk_fma_f32 v[10:11], v[2:3], v[8:9], v[4:5]
	v_pk_fma_f32 v[4:5], v[2:3], v[8:9], v[4:5] op_sel_hi:[0,1,1] neg_lo:[1,0,0] neg_hi:[1,0,0]
	v_mov_b32_e32 v11, v5
	v_pk_fma_f32 v[0:1], v[2:3], v[8:9], v[0:1] op_sel_hi:[0,1,1] neg_lo:[1,0,0] neg_hi:[1,0,0]
	ds_write_b64 v96, v[10:11]
	ds_write_b64 v6, v[0:1] offset:5824
.LBB0_33:
	s_or_b64 exec, exec, s[2:3]
	s_waitcnt lgkmcnt(0)
	; wave barrier
	s_waitcnt lgkmcnt(0)
	s_and_saveexec_b64 s[0:1], vcc
	s_cbranch_execz .LBB0_36
; %bb.34:
	v_mul_lo_u32 v2, s11, v52
	v_mul_lo_u32 v3, s10, v53
	v_mad_u64_u32 v[0:1], s[0:1], s10, v52, 0
	v_lshl_add_u32 v10, v50, 3, 0
	v_add3_u32 v1, v1, v3, v2
	ds_read2_b64 v[2:5], v10 offset1:56
	v_lshl_add_u64 v[0:1], v[0:1], 3, s[6:7]
	v_mov_b32_e32 v51, 0
	v_lshl_add_u64 v[0:1], v[48:49], 3, v[0:1]
	v_lshl_add_u64 v[6:7], v[50:51], 3, v[0:1]
	s_waitcnt lgkmcnt(0)
	global_store_dwordx2 v[6:7], v[2:3], off
	ds_read2_b64 v[6:9], v10 offset0:112 offset1:168
	v_add_u32_e32 v2, 56, v50
	v_mov_b32_e32 v3, v51
	v_lshl_add_u64 v[2:3], v[2:3], 3, v[0:1]
	global_store_dwordx2 v[2:3], v[4:5], off
	v_add_u32_e32 v2, 0x70, v50
	v_mov_b32_e32 v3, v51
	v_lshl_add_u64 v[2:3], v[2:3], 3, v[0:1]
	s_waitcnt lgkmcnt(0)
	global_store_dwordx2 v[2:3], v[6:7], off
	v_add_u32_e32 v2, 0xa8, v50
	v_mov_b32_e32 v3, v51
	v_lshl_add_u64 v[6:7], v[2:3], 3, v[0:1]
	v_add_u32_e32 v2, 0x400, v10
	ds_read2_b64 v[2:5], v2 offset0:96 offset1:152
	global_store_dwordx2 v[6:7], v[8:9], off
	v_add_u32_e32 v6, 0xe0, v50
	v_mov_b32_e32 v7, v51
	v_lshl_add_u64 v[6:7], v[6:7], 3, v[0:1]
	v_add_u32_e32 v11, 0x800, v10
	s_waitcnt lgkmcnt(0)
	global_store_dwordx2 v[6:7], v[2:3], off
	ds_read2_b64 v[6:9], v11 offset0:80 offset1:136
	v_add_u32_e32 v2, 0x118, v50
	v_mov_b32_e32 v3, v51
	v_lshl_add_u64 v[2:3], v[2:3], 3, v[0:1]
	global_store_dwordx2 v[2:3], v[4:5], off
	v_add_u32_e32 v2, 0x150, v50
	v_mov_b32_e32 v3, v51
	v_lshl_add_u64 v[2:3], v[2:3], 3, v[0:1]
	s_waitcnt lgkmcnt(0)
	global_store_dwordx2 v[2:3], v[6:7], off
	v_add_u32_e32 v2, 0x188, v50
	v_mov_b32_e32 v3, v51
	v_lshl_add_u64 v[6:7], v[2:3], 3, v[0:1]
	ds_read2_b64 v[2:5], v11 offset0:192 offset1:248
	global_store_dwordx2 v[6:7], v[8:9], off
	v_add_u32_e32 v6, 0x1c0, v50
	v_mov_b32_e32 v7, v51
	v_lshl_add_u64 v[6:7], v[6:7], 3, v[0:1]
	v_add_u32_e32 v11, 0x1000, v10
	s_waitcnt lgkmcnt(0)
	global_store_dwordx2 v[6:7], v[2:3], off
	ds_read2_b64 v[6:9], v11 offset0:48 offset1:104
	v_add_u32_e32 v2, 0x1f8, v50
	v_mov_b32_e32 v3, v51
	v_lshl_add_u64 v[2:3], v[2:3], 3, v[0:1]
	global_store_dwordx2 v[2:3], v[4:5], off
	v_add_u32_e32 v2, 0x230, v50
	v_mov_b32_e32 v3, v51
	v_lshl_add_u64 v[2:3], v[2:3], 3, v[0:1]
	s_waitcnt lgkmcnt(0)
	global_store_dwordx2 v[2:3], v[6:7], off
	v_add_u32_e32 v2, 0x268, v50
	v_mov_b32_e32 v3, v51
	v_lshl_add_u64 v[6:7], v[2:3], 3, v[0:1]
	;; [unrolled: 21-line block ×3, first 2 shown]
	ds_read2_b64 v[2:5], v11 offset0:128 offset1:184
	global_store_dwordx2 v[6:7], v[8:9], off
	v_add_u32_e32 v6, 0x380, v50
	v_mov_b32_e32 v7, v51
	v_lshl_add_u64 v[6:7], v[6:7], 3, v[0:1]
	s_waitcnt lgkmcnt(0)
	global_store_dwordx2 v[6:7], v[2:3], off
	v_add_u32_e32 v6, 0x1c00, v10
	ds_read2_b64 v[6:9], v6 offset0:112 offset1:168
	v_add_u32_e32 v2, 0x3b8, v50
	v_mov_b32_e32 v3, v51
	v_lshl_add_u64 v[2:3], v[2:3], 3, v[0:1]
	global_store_dwordx2 v[2:3], v[4:5], off
	v_add_u32_e32 v2, 0x3f0, v50
	v_mov_b32_e32 v3, v51
	v_lshl_add_u64 v[2:3], v[2:3], 3, v[0:1]
	s_waitcnt lgkmcnt(0)
	global_store_dwordx2 v[2:3], v[6:7], off
	v_add_u32_e32 v2, 0x428, v50
	v_mov_b32_e32 v3, v51
	v_lshl_add_u64 v[6:7], v[2:3], 3, v[0:1]
	v_add_u32_e32 v2, 0x2000, v10
	ds_read2_b64 v[2:5], v2 offset0:96 offset1:152
	global_store_dwordx2 v[6:7], v[8:9], off
	v_add_u32_e32 v6, 0x460, v50
	v_mov_b32_e32 v7, v51
	v_lshl_add_u64 v[6:7], v[6:7], 3, v[0:1]
	s_waitcnt lgkmcnt(0)
	global_store_dwordx2 v[6:7], v[2:3], off
	v_add_u32_e32 v6, 0x2400, v10
	ds_read2_b64 v[6:9], v6 offset0:80 offset1:136
	v_add_u32_e32 v2, 0x498, v50
	v_mov_b32_e32 v3, v51
	v_lshl_add_u64 v[2:3], v[2:3], 3, v[0:1]
	global_store_dwordx2 v[2:3], v[4:5], off
	v_add_u32_e32 v2, 0x4d0, v50
	v_mov_b32_e32 v3, v51
	v_lshl_add_u64 v[2:3], v[2:3], 3, v[0:1]
	ds_read_b64 v[4:5], v10 offset:10752
	s_waitcnt lgkmcnt(1)
	global_store_dwordx2 v[2:3], v[6:7], off
	v_add_u32_e32 v2, 0x508, v50
	v_mov_b32_e32 v3, v51
	v_lshl_add_u64 v[2:3], v[2:3], 3, v[0:1]
	global_store_dwordx2 v[2:3], v[8:9], off
	v_add_u32_e32 v2, 0x540, v50
	v_mov_b32_e32 v3, v51
	v_lshl_add_u64 v[2:3], v[2:3], 3, v[0:1]
	v_cmp_eq_u32_e32 vcc, 55, v50
	s_waitcnt lgkmcnt(0)
	global_store_dwordx2 v[2:3], v[4:5], off
	s_and_b64 exec, exec, vcc
	s_cbranch_execz .LBB0_36
; %bb.35:
	ds_read_b64 v[2:3], v51 offset:11200
	v_add_co_u32_e32 v0, vcc, 0x2000, v0
	s_nop 1
	v_addc_co_u32_e32 v1, vcc, 0, v1, vcc
	s_waitcnt lgkmcnt(0)
	global_store_dwordx2 v[0:1], v[2:3], off offset:3008
.LBB0_36:
	s_endpgm
	.section	.rodata,"a",@progbits
	.p2align	6, 0x0
	.amdhsa_kernel fft_rtc_back_len1400_factors_2_2_2_5_7_5_wgs_56_tpt_56_halfLds_sp_op_CI_CI_unitstride_sbrr_R2C_dirReg
		.amdhsa_group_segment_fixed_size 0
		.amdhsa_private_segment_fixed_size 0
		.amdhsa_kernarg_size 104
		.amdhsa_user_sgpr_count 2
		.amdhsa_user_sgpr_dispatch_ptr 0
		.amdhsa_user_sgpr_queue_ptr 0
		.amdhsa_user_sgpr_kernarg_segment_ptr 1
		.amdhsa_user_sgpr_dispatch_id 0
		.amdhsa_user_sgpr_kernarg_preload_length 0
		.amdhsa_user_sgpr_kernarg_preload_offset 0
		.amdhsa_user_sgpr_private_segment_size 0
		.amdhsa_uses_dynamic_stack 0
		.amdhsa_enable_private_segment 0
		.amdhsa_system_sgpr_workgroup_id_x 1
		.amdhsa_system_sgpr_workgroup_id_y 0
		.amdhsa_system_sgpr_workgroup_id_z 0
		.amdhsa_system_sgpr_workgroup_info 0
		.amdhsa_system_vgpr_workitem_id 0
		.amdhsa_next_free_vgpr 164
		.amdhsa_next_free_sgpr 28
		.amdhsa_accum_offset 164
		.amdhsa_reserve_vcc 1
		.amdhsa_float_round_mode_32 0
		.amdhsa_float_round_mode_16_64 0
		.amdhsa_float_denorm_mode_32 3
		.amdhsa_float_denorm_mode_16_64 3
		.amdhsa_dx10_clamp 1
		.amdhsa_ieee_mode 1
		.amdhsa_fp16_overflow 0
		.amdhsa_tg_split 0
		.amdhsa_exception_fp_ieee_invalid_op 0
		.amdhsa_exception_fp_denorm_src 0
		.amdhsa_exception_fp_ieee_div_zero 0
		.amdhsa_exception_fp_ieee_overflow 0
		.amdhsa_exception_fp_ieee_underflow 0
		.amdhsa_exception_fp_ieee_inexact 0
		.amdhsa_exception_int_div_zero 0
	.end_amdhsa_kernel
	.text
.Lfunc_end0:
	.size	fft_rtc_back_len1400_factors_2_2_2_5_7_5_wgs_56_tpt_56_halfLds_sp_op_CI_CI_unitstride_sbrr_R2C_dirReg, .Lfunc_end0-fft_rtc_back_len1400_factors_2_2_2_5_7_5_wgs_56_tpt_56_halfLds_sp_op_CI_CI_unitstride_sbrr_R2C_dirReg
                                        ; -- End function
	.section	.AMDGPU.csdata,"",@progbits
; Kernel info:
; codeLenInByte = 17304
; NumSgprs: 34
; NumVgprs: 164
; NumAgprs: 0
; TotalNumVgprs: 164
; ScratchSize: 0
; MemoryBound: 0
; FloatMode: 240
; IeeeMode: 1
; LDSByteSize: 0 bytes/workgroup (compile time only)
; SGPRBlocks: 4
; VGPRBlocks: 20
; NumSGPRsForWavesPerEU: 34
; NumVGPRsForWavesPerEU: 164
; AccumOffset: 164
; Occupancy: 3
; WaveLimiterHint : 1
; COMPUTE_PGM_RSRC2:SCRATCH_EN: 0
; COMPUTE_PGM_RSRC2:USER_SGPR: 2
; COMPUTE_PGM_RSRC2:TRAP_HANDLER: 0
; COMPUTE_PGM_RSRC2:TGID_X_EN: 1
; COMPUTE_PGM_RSRC2:TGID_Y_EN: 0
; COMPUTE_PGM_RSRC2:TGID_Z_EN: 0
; COMPUTE_PGM_RSRC2:TIDIG_COMP_CNT: 0
; COMPUTE_PGM_RSRC3_GFX90A:ACCUM_OFFSET: 40
; COMPUTE_PGM_RSRC3_GFX90A:TG_SPLIT: 0
	.text
	.p2alignl 6, 3212836864
	.fill 256, 4, 3212836864
	.type	__hip_cuid_1ea6e9961c4688fb,@object ; @__hip_cuid_1ea6e9961c4688fb
	.section	.bss,"aw",@nobits
	.globl	__hip_cuid_1ea6e9961c4688fb
__hip_cuid_1ea6e9961c4688fb:
	.byte	0                               ; 0x0
	.size	__hip_cuid_1ea6e9961c4688fb, 1

	.ident	"AMD clang version 19.0.0git (https://github.com/RadeonOpenCompute/llvm-project roc-6.4.0 25133 c7fe45cf4b819c5991fe208aaa96edf142730f1d)"
	.section	".note.GNU-stack","",@progbits
	.addrsig
	.addrsig_sym __hip_cuid_1ea6e9961c4688fb
	.amdgpu_metadata
---
amdhsa.kernels:
  - .agpr_count:     0
    .args:
      - .actual_access:  read_only
        .address_space:  global
        .offset:         0
        .size:           8
        .value_kind:     global_buffer
      - .offset:         8
        .size:           8
        .value_kind:     by_value
      - .actual_access:  read_only
        .address_space:  global
        .offset:         16
        .size:           8
        .value_kind:     global_buffer
      - .actual_access:  read_only
        .address_space:  global
        .offset:         24
        .size:           8
        .value_kind:     global_buffer
      - .actual_access:  read_only
        .address_space:  global
        .offset:         32
        .size:           8
        .value_kind:     global_buffer
      - .offset:         40
        .size:           8
        .value_kind:     by_value
      - .actual_access:  read_only
        .address_space:  global
        .offset:         48
        .size:           8
        .value_kind:     global_buffer
      - .actual_access:  read_only
        .address_space:  global
        .offset:         56
        .size:           8
        .value_kind:     global_buffer
      - .offset:         64
        .size:           4
        .value_kind:     by_value
      - .actual_access:  read_only
        .address_space:  global
        .offset:         72
        .size:           8
        .value_kind:     global_buffer
      - .actual_access:  read_only
        .address_space:  global
        .offset:         80
        .size:           8
        .value_kind:     global_buffer
      - .actual_access:  read_only
        .address_space:  global
        .offset:         88
        .size:           8
        .value_kind:     global_buffer
      - .actual_access:  write_only
        .address_space:  global
        .offset:         96
        .size:           8
        .value_kind:     global_buffer
    .group_segment_fixed_size: 0
    .kernarg_segment_align: 8
    .kernarg_segment_size: 104
    .language:       OpenCL C
    .language_version:
      - 2
      - 0
    .max_flat_workgroup_size: 56
    .name:           fft_rtc_back_len1400_factors_2_2_2_5_7_5_wgs_56_tpt_56_halfLds_sp_op_CI_CI_unitstride_sbrr_R2C_dirReg
    .private_segment_fixed_size: 0
    .sgpr_count:     34
    .sgpr_spill_count: 0
    .symbol:         fft_rtc_back_len1400_factors_2_2_2_5_7_5_wgs_56_tpt_56_halfLds_sp_op_CI_CI_unitstride_sbrr_R2C_dirReg.kd
    .uniform_work_group_size: 1
    .uses_dynamic_stack: false
    .vgpr_count:     164
    .vgpr_spill_count: 0
    .wavefront_size: 64
amdhsa.target:   amdgcn-amd-amdhsa--gfx950
amdhsa.version:
  - 1
  - 2
...

	.end_amdgpu_metadata
